;; amdgpu-corpus repo=ROCm/rocFFT kind=compiled arch=gfx950 opt=O3
	.text
	.amdgcn_target "amdgcn-amd-amdhsa--gfx950"
	.amdhsa_code_object_version 6
	.protected	bluestein_single_fwd_len1155_dim1_dp_op_CI_CI ; -- Begin function bluestein_single_fwd_len1155_dim1_dp_op_CI_CI
	.globl	bluestein_single_fwd_len1155_dim1_dp_op_CI_CI
	.p2align	8
	.type	bluestein_single_fwd_len1155_dim1_dp_op_CI_CI,@function
bluestein_single_fwd_len1155_dim1_dp_op_CI_CI: ; @bluestein_single_fwd_len1155_dim1_dp_op_CI_CI
; %bb.0:
	s_load_dwordx4 s[4:7], s[0:1], 0x28
	v_mul_u32_u24_e32 v1, 0x4a8, v0
	v_mov_b32_e32 v219, 0
	v_add_u32_sdwa v220, s2, v1 dst_sel:DWORD dst_unused:UNUSED_PAD src0_sel:DWORD src1_sel:WORD_1
	v_mov_b32_e32 v221, v219
	s_waitcnt lgkmcnt(0)
	v_cmp_gt_u64_e32 vcc, s[4:5], v[220:221]
	s_and_saveexec_b64 s[2:3], vcc
	s_cbranch_execz .LBB0_23
; %bb.1:
	s_load_dwordx4 s[12:15], s[0:1], 0x18
	s_load_dwordx2 s[2:3], s[0:1], 0x0
	v_mov_b32_e32 v4, 55
	v_mul_lo_u16_sdwa v1, v1, v4 dst_sel:DWORD dst_unused:UNUSED_PAD src0_sel:WORD_1 src1_sel:DWORD
	v_sub_u16_e32 v218, v0, v1
	s_waitcnt lgkmcnt(0)
	s_load_dwordx4 s[8:11], s[12:13], 0x0
	v_mov_b32_e32 v2, s6
	v_mov_b32_e32 v3, s7
	v_lshlrev_b32_e32 v92, 4, v218
	v_mov_b32_e32 v93, v219
	s_waitcnt lgkmcnt(0)
	v_mad_u64_u32 v[0:1], s[4:5], s10, v220, 0
	v_mov_b32_e32 v4, v1
	v_mad_u64_u32 v[4:5], s[4:5], s11, v220, v[4:5]
	v_mov_b32_e32 v1, v4
	v_mad_u64_u32 v[4:5], s[4:5], s8, v218, 0
	v_mov_b32_e32 v6, v5
	v_mad_u64_u32 v[6:7], s[4:5], s9, v218, v[6:7]
	s_mul_i32 s4, s9, 0x69
	s_mul_hi_u32 s5, s8, 0x69
	v_mov_b32_e32 v5, v6
	v_lshl_add_u64 v[0:1], v[0:1], 4, v[2:3]
	s_add_i32 s5, s5, s4
	s_mul_i32 s4, s8, 0x69
	v_lshl_add_u64 v[0:1], v[4:5], 4, v[0:1]
	s_lshl_b64 s[12:13], s[4:5], 4
	global_load_dwordx4 v[228:231], v92, s[2:3]
	global_load_dwordx4 v[4:7], v[0:1], off
	v_lshl_add_u64 v[8:9], v[0:1], 0, s[12:13]
	v_lshl_add_u64 v[238:239], s[2:3], 0, v[92:93]
	global_load_dwordx4 v[0:3], v[8:9], off
	v_lshl_add_u64 v[8:9], v[8:9], 0, s[12:13]
	s_movk_i32 s4, 0x1000
	global_load_dwordx4 v[94:97], v92, s[2:3] offset:1680
	global_load_dwordx4 v[232:235], v92, s[2:3] offset:3360
	v_lshl_add_u64 v[10:11], v[8:9], 0, s[12:13]
	global_load_dwordx4 v[18:21], v[8:9], off
	global_load_dwordx4 v[22:25], v[10:11], off
	v_add_co_u32_e32 v8, vcc, s4, v238
	v_lshl_add_u64 v[10:11], v[10:11], 0, s[12:13]
	s_nop 0
	v_addc_co_u32_e32 v9, vcc, 0, v239, vcc
	global_load_dwordx4 v[74:77], v[8:9], off offset:944
	s_movk_i32 s4, 0x2000
	global_load_dwordx4 v[26:29], v[10:11], off
	global_load_dwordx4 v[58:61], v[8:9], off offset:2624
	v_lshl_add_u64 v[12:13], v[10:11], 0, s[12:13]
	v_add_co_u32_e32 v10, vcc, s4, v238
	global_load_dwordx4 v[30:33], v[12:13], off
	s_nop 0
	v_addc_co_u32_e32 v11, vcc, 0, v239, vcc
	global_load_dwordx4 v[78:81], v[10:11], off offset:208
	v_lshl_add_u64 v[12:13], v[12:13], 0, s[12:13]
	global_load_dwordx4 v[34:37], v[12:13], off
	global_load_dwordx4 v[62:65], v[10:11], off offset:1888
	v_lshl_add_u64 v[12:13], v[12:13], 0, s[12:13]
	global_load_dwordx4 v[38:41], v[12:13], off
	global_load_dwordx4 v[70:73], v[10:11], off offset:3568
	v_lshl_add_u64 v[14:15], v[12:13], 0, s[12:13]
	s_movk_i32 s4, 0x3000
	global_load_dwordx4 v[42:45], v[14:15], off
	v_add_co_u32_e32 v12, vcc, s4, v238
	v_lshl_add_u64 v[14:15], v[14:15], 0, s[12:13]
	s_nop 0
	v_addc_co_u32_e32 v13, vcc, 0, v239, vcc
	s_movk_i32 s4, 0x4000
	global_load_dwordx4 v[86:89], v[12:13], off offset:1152
	global_load_dwordx4 v[46:49], v[14:15], off
	global_load_dwordx4 v[66:69], v[12:13], off offset:2832
	v_lshl_add_u64 v[16:17], v[14:15], 0, s[12:13]
	v_add_co_u32_e32 v14, vcc, s4, v238
	s_waitcnt vmcnt(18)
	v_mul_f64 v[54:55], v[6:7], v[230:231]
	v_addc_co_u32_e32 v15, vcc, 0, v239, vcc
	global_load_dwordx4 v[82:85], v[14:15], off offset:416
	global_load_dwordx4 v[50:53], v[16:17], off
	v_mul_f64 v[56:57], v[4:5], v[230:231]
	v_fmac_f64_e32 v[54:55], v[4:5], v[228:229]
	v_fma_f64 v[56:57], v[6:7], v[228:229], -v[56:57]
	s_waitcnt vmcnt(18)
	v_mul_f64 v[4:5], v[2:3], v[96:97]
	v_mul_f64 v[6:7], v[0:1], v[96:97]
	v_fmac_f64_e32 v[4:5], v[0:1], v[94:95]
	v_fma_f64 v[6:7], v[2:3], v[94:95], -v[6:7]
	s_waitcnt vmcnt(16)
	v_mul_f64 v[0:1], v[20:21], v[234:235]
	v_mul_f64 v[2:3], v[18:19], v[234:235]
	v_fmac_f64_e32 v[0:1], v[18:19], v[232:233]
	v_fma_f64 v[2:3], v[20:21], v[232:233], -v[2:3]
	s_load_dwordx2 s[10:11], s[0:1], 0x38
	s_load_dwordx4 s[4:7], s[14:15], 0x0
	ds_write_b128 v92, v[0:3] offset:3360
	s_waitcnt vmcnt(14)
	v_mul_f64 v[0:1], v[22:23], v[76:77]
	ds_write_b128 v92, v[4:7] offset:1680
	v_fma_f64 v[6:7], v[24:25], v[74:75], -v[0:1]
	s_waitcnt vmcnt(12)
	v_mul_f64 v[0:1], v[28:29], v[60:61]
	v_mul_f64 v[2:3], v[26:27], v[60:61]
	v_fmac_f64_e32 v[0:1], v[26:27], v[58:59]
	v_fma_f64 v[2:3], v[28:29], v[58:59], -v[2:3]
	ds_write_b128 v92, v[0:3] offset:6720
	s_waitcnt vmcnt(10)
	v_mul_f64 v[0:1], v[32:33], v[80:81]
	v_mul_f64 v[2:3], v[30:31], v[80:81]
	v_fmac_f64_e32 v[0:1], v[30:31], v[78:79]
	v_fma_f64 v[2:3], v[32:33], v[78:79], -v[2:3]
	ds_write_b128 v92, v[0:3] offset:8400
	;; [unrolled: 6-line block ×5, first 2 shown]
	s_waitcnt vmcnt(2)
	v_mul_f64 v[0:1], v[48:49], v[68:69]
	v_mul_f64 v[2:3], v[46:47], v[68:69]
	v_fmac_f64_e32 v[0:1], v[46:47], v[66:67]
	v_fma_f64 v[2:3], v[48:49], v[66:67], -v[2:3]
	v_accvgpr_write_b32 a44, v94
	v_mul_f64 v[4:5], v[24:25], v[76:77]
	v_accvgpr_write_b32 a28, v74
	v_accvgpr_write_b32 a12, v58
	;; [unrolled: 1-line block ×7, first 2 shown]
	ds_write_b128 v92, v[0:3] offset:15120
	v_accvgpr_write_b32 a45, v95
	v_accvgpr_write_b32 a46, v96
	;; [unrolled: 1-line block ×3, first 2 shown]
	v_fmac_f64_e32 v[4:5], v[22:23], v[74:75]
	v_accvgpr_write_b32 a29, v75
	v_accvgpr_write_b32 a30, v76
	;; [unrolled: 1-line block ×19, first 2 shown]
	s_waitcnt vmcnt(1)
	v_accvgpr_write_b32 a36, v82
	s_waitcnt vmcnt(0)
	v_mul_f64 v[0:1], v[52:53], v[84:85]
	v_mul_f64 v[2:3], v[50:51], v[84:85]
	v_accvgpr_write_b32 a22, v68
	v_accvgpr_write_b32 a23, v69
	v_fmac_f64_e32 v[0:1], v[50:51], v[82:83]
	v_accvgpr_write_b32 a37, v83
	v_accvgpr_write_b32 a38, v84
	;; [unrolled: 1-line block ×3, first 2 shown]
	v_fma_f64 v[2:3], v[52:53], v[82:83], -v[2:3]
	v_cmp_gt_u16_e32 vcc, 50, v218
	ds_write_b128 v92, v[54:57]
	ds_write_b128 v92, v[4:7] offset:5040
	ds_write_b128 v92, v[0:3] offset:16800
	s_and_saveexec_b64 s[14:15], vcc
	s_cbranch_execz .LBB0_3
; %bb.2:
	v_mov_b32_e32 v0, 0xffffc1d0
	s_mulk_i32 s9, 0xc1d0
	v_mad_u64_u32 v[16:17], s[16:17], s8, v0, v[16:17]
	s_sub_i32 s8, s9, s8
	v_add_u32_e32 v17, s8, v17
	v_lshl_add_u64 v[24:25], v[16:17], 0, s[12:13]
	global_load_dwordx4 v[0:3], v[16:17], off
	global_load_dwordx4 v[4:7], v[238:239], off offset:880
	v_lshl_add_u64 v[36:37], v[24:25], 0, s[12:13]
	global_load_dwordx4 v[16:19], v[24:25], off
	global_load_dwordx4 v[20:23], v[238:239], off offset:2560
	;; [unrolled: 3-line block ×3, first 2 shown]
	global_load_dwordx4 v[32:35], v[8:9], off offset:1824
	v_lshl_add_u64 v[52:53], v[40:41], 0, s[12:13]
	global_load_dwordx4 v[36:39], v[40:41], off
	s_nop 0
	global_load_dwordx4 v[40:43], v[52:53], off
	global_load_dwordx4 v[44:47], v[8:9], off offset:3504
	global_load_dwordx4 v[48:51], v[10:11], off offset:1088
	v_lshl_add_u64 v[8:9], v[52:53], 0, s[12:13]
	global_load_dwordx4 v[52:55], v[8:9], off
	v_lshl_add_u64 v[8:9], v[8:9], 0, s[12:13]
	v_lshl_add_u64 v[68:69], v[8:9], 0, s[12:13]
	global_load_dwordx4 v[56:59], v[8:9], off
	global_load_dwordx4 v[60:63], v[10:11], off offset:2768
	global_load_dwordx4 v[64:67], v[12:13], off offset:352
	v_lshl_add_u64 v[80:81], v[68:69], 0, s[12:13]
	global_load_dwordx4 v[8:11], v[68:69], off
	v_lshl_add_u64 v[84:85], v[80:81], 0, s[12:13]
	global_load_dwordx4 v[68:71], v[80:81], off
	global_load_dwordx4 v[72:75], v[12:13], off offset:2032
	global_load_dwordx4 v[76:79], v[12:13], off offset:3712
	s_nop 0
	global_load_dwordx4 v[80:83], v[84:85], off
	s_nop 0
	global_load_dwordx4 v[12:15], v[14:15], off offset:1296
	v_lshl_add_u64 v[84:85], v[84:85], 0, s[12:13]
	global_load_dwordx4 v[84:87], v[84:85], off
	s_waitcnt vmcnt(20)
	v_mul_f64 v[88:89], v[2:3], v[6:7]
	v_mul_f64 v[6:7], v[0:1], v[6:7]
	v_fmac_f64_e32 v[88:89], v[0:1], v[4:5]
	v_fma_f64 v[90:91], v[2:3], v[4:5], -v[6:7]
	s_waitcnt vmcnt(18)
	v_mul_f64 v[0:1], v[18:19], v[22:23]
	v_mul_f64 v[2:3], v[16:17], v[22:23]
	s_waitcnt vmcnt(16)
	v_mul_f64 v[4:5], v[26:27], v[30:31]
	v_mul_f64 v[6:7], v[24:25], v[30:31]
	v_fmac_f64_e32 v[0:1], v[16:17], v[20:21]
	v_fma_f64 v[2:3], v[18:19], v[20:21], -v[2:3]
	v_fmac_f64_e32 v[4:5], v[24:25], v[28:29]
	v_fma_f64 v[6:7], v[26:27], v[28:29], -v[6:7]
	ds_write_b128 v92, v[0:3] offset:2560
	s_waitcnt vmcnt(14)
	v_mul_f64 v[0:1], v[38:39], v[34:35]
	v_mul_f64 v[2:3], v[36:37], v[34:35]
	ds_write_b128 v92, v[4:7] offset:4240
	s_waitcnt vmcnt(12)
	v_mul_f64 v[4:5], v[42:43], v[46:47]
	v_mul_f64 v[6:7], v[40:41], v[46:47]
	v_fmac_f64_e32 v[0:1], v[36:37], v[32:33]
	v_fma_f64 v[2:3], v[38:39], v[32:33], -v[2:3]
	v_fmac_f64_e32 v[4:5], v[40:41], v[44:45]
	v_fma_f64 v[6:7], v[42:43], v[44:45], -v[6:7]
	ds_write_b128 v92, v[0:3] offset:5920
	s_waitcnt vmcnt(10)
	v_mul_f64 v[0:1], v[54:55], v[50:51]
	v_mul_f64 v[2:3], v[52:53], v[50:51]
	ds_write_b128 v92, v[4:7] offset:7600
	;; [unrolled: 12-line block ×4, first 2 shown]
	s_waitcnt vmcnt(0)
	v_mul_f64 v[4:5], v[86:87], v[14:15]
	v_mul_f64 v[6:7], v[84:85], v[14:15]
	v_fmac_f64_e32 v[0:1], v[80:81], v[76:77]
	v_fma_f64 v[2:3], v[82:83], v[76:77], -v[2:3]
	v_fmac_f64_e32 v[4:5], v[84:85], v[12:13]
	v_fma_f64 v[6:7], v[86:87], v[12:13], -v[6:7]
	ds_write_b128 v92, v[88:91] offset:880
	ds_write_b128 v92, v[0:3] offset:16000
	;; [unrolled: 1-line block ×3, first 2 shown]
.LBB0_3:
	s_or_b64 exec, exec, s[14:15]
	s_waitcnt lgkmcnt(0)
	; wave barrier
	s_waitcnt lgkmcnt(0)
	ds_read_b128 v[76:79], v92
	ds_read_b128 v[84:87], v92 offset:1680
	ds_read_b128 v[72:75], v92 offset:3360
	;; [unrolled: 1-line block ×10, first 2 shown]
                                        ; implicit-def: $vgpr4_vgpr5
                                        ; implicit-def: $vgpr8_vgpr9
                                        ; implicit-def: $vgpr12_vgpr13
                                        ; implicit-def: $vgpr16_vgpr17
                                        ; implicit-def: $vgpr24_vgpr25
                                        ; implicit-def: $vgpr28_vgpr29
                                        ; implicit-def: $vgpr32_vgpr33
                                        ; implicit-def: $vgpr36_vgpr37
                                        ; implicit-def: $vgpr44_vgpr45
                                        ; implicit-def: $vgpr48_vgpr49
                                        ; implicit-def: $vgpr52_vgpr53
	s_and_saveexec_b64 s[8:9], vcc
	s_cbranch_execz .LBB0_5
; %bb.4:
	ds_read_b128 v[4:7], v92 offset:880
	ds_read_b128 v[8:11], v92 offset:2560
	;; [unrolled: 1-line block ×11, first 2 shown]
.LBB0_5:
	s_or_b64 exec, exec, s[8:9]
	s_waitcnt lgkmcnt(9)
	v_add_f64 v[68:69], v[76:77], v[84:85]
	v_add_f64 v[70:71], v[78:79], v[86:87]
	s_waitcnt lgkmcnt(8)
	v_add_f64 v[68:69], v[68:69], v[72:73]
	v_add_f64 v[70:71], v[70:71], v[74:75]
	;; [unrolled: 3-line block ×7, first 2 shown]
	s_waitcnt lgkmcnt(2)
	v_add_f64 v[68:69], v[68:69], v[64:65]
	s_mov_b32 s12, 0xf8bb580b
	s_mov_b32 s20, 0x8eee2c13
	;; [unrolled: 1-line block ×5, first 2 shown]
	s_load_dwordx2 s[8:9], s[0:1], 0x8
	v_add_f64 v[70:71], v[70:71], v[66:67]
	s_waitcnt lgkmcnt(0)
	v_add_f64 v[68:69], v[68:69], v[80:81]
	v_add_f64 v[96:97], v[86:87], v[90:91]
	v_add_f64 v[86:87], v[86:87], -v[90:91]
	s_mov_b32 s13, 0xbfe14ced
	s_mov_b32 s0, 0x8764f0ba
	;; [unrolled: 1-line block ×10, first 2 shown]
	v_add_f64 v[70:71], v[70:71], v[82:83]
	v_add_f64 v[68:69], v[68:69], v[88:89]
	;; [unrolled: 1-line block ×3, first 2 shown]
	v_add_f64 v[84:85], v[84:85], -v[88:89]
	v_mul_f64 v[88:89], v[86:87], s[12:13]
	s_mov_b32 s1, 0x3feaeb8c
	v_mul_f64 v[102:103], v[86:87], s[20:21]
	s_mov_b32 s15, 0x3fda9628
	;; [unrolled: 2-line block ×5, first 2 shown]
	v_add_f64 v[70:71], v[70:71], v[90:91]
	v_fma_f64 v[90:91], v[94:95], s[0:1], -v[88:89]
	v_mul_f64 v[98:99], v[84:85], s[12:13]
	v_fmac_f64_e32 v[88:89], s[0:1], v[94:95]
	v_fma_f64 v[104:105], v[94:95], s[14:15], -v[102:103]
	v_mul_f64 v[106:107], v[84:85], s[20:21]
	v_fmac_f64_e32 v[102:103], s[14:15], v[94:95]
	;; [unrolled: 3-line block ×5, first 2 shown]
	v_add_f64 v[90:91], v[76:77], v[90:91]
	v_fma_f64 v[100:101], s[0:1], v[96:97], v[98:99]
	v_add_f64 v[88:89], v[76:77], v[88:89]
	v_fma_f64 v[98:99], v[96:97], s[0:1], -v[98:99]
	v_add_f64 v[104:105], v[76:77], v[104:105]
	v_fma_f64 v[108:109], s[14:15], v[96:97], v[106:107]
	v_add_f64 v[102:103], v[76:77], v[102:103]
	v_fma_f64 v[106:107], v[96:97], s[14:15], -v[106:107]
	;; [unrolled: 4-line block ×5, first 2 shown]
	v_add_f64 v[86:87], v[74:75], v[82:83]
	v_add_f64 v[74:75], v[74:75], -v[82:83]
	v_add_f64 v[100:101], v[78:79], v[100:101]
	v_add_f64 v[98:99], v[78:79], v[98:99]
	;; [unrolled: 1-line block ×11, first 2 shown]
	v_add_f64 v[72:73], v[72:73], -v[80:81]
	v_mul_f64 v[80:81], v[74:75], s[20:21]
	v_fma_f64 v[82:83], v[84:85], s[14:15], -v[80:81]
	v_add_f64 v[82:83], v[82:83], v[90:91]
	v_mul_f64 v[90:91], v[72:73], s[20:21]
	v_fmac_f64_e32 v[80:81], s[14:15], v[84:85]
	v_fma_f64 v[94:95], s[14:15], v[86:87], v[90:91]
	v_add_f64 v[80:81], v[80:81], v[88:89]
	v_fma_f64 v[88:89], v[86:87], s[14:15], -v[90:91]
	v_mul_f64 v[90:91], v[74:75], s[24:25]
	v_add_f64 v[88:89], v[88:89], v[98:99]
	v_fma_f64 v[96:97], v[84:85], s[22:23], -v[90:91]
	v_mul_f64 v[98:99], v[72:73], s[24:25]
	v_fmac_f64_e32 v[90:91], s[22:23], v[84:85]
	s_mov_b32 s31, 0x3fd207e7
	s_mov_b32 s30, s28
	v_add_f64 v[94:95], v[94:95], v[100:101]
	v_fma_f64 v[100:101], s[22:23], v[86:87], v[98:99]
	v_add_f64 v[90:91], v[90:91], v[102:103]
	v_fma_f64 v[98:99], v[86:87], s[22:23], -v[98:99]
	v_mul_f64 v[102:103], v[74:75], s[30:31]
	v_add_f64 v[96:97], v[96:97], v[104:105]
	v_add_f64 v[98:99], v[98:99], v[106:107]
	v_fma_f64 v[104:105], v[84:85], s[26:27], -v[102:103]
	v_mul_f64 v[106:107], v[72:73], s[30:31]
	v_fmac_f64_e32 v[102:103], s[26:27], v[84:85]
	s_mov_b32 s35, 0x3fefac9e
	s_mov_b32 s34, s18
	v_add_f64 v[100:101], v[100:101], v[108:109]
	v_fma_f64 v[108:109], s[26:27], v[86:87], v[106:107]
	v_add_f64 v[102:103], v[102:103], v[110:111]
	v_fma_f64 v[106:107], v[86:87], s[26:27], -v[106:107]
	v_mul_f64 v[110:111], v[74:75], s[34:35]
	s_mov_b32 s37, 0x3fe14ced
	s_mov_b32 s36, s12
	v_add_f64 v[104:105], v[104:105], v[112:113]
	v_add_f64 v[106:107], v[106:107], v[114:115]
	v_fma_f64 v[112:113], v[84:85], s[16:17], -v[110:111]
	v_mul_f64 v[114:115], v[72:73], s[34:35]
	v_mul_f64 v[72:73], v[72:73], s[36:37]
	v_add_f64 v[112:113], v[112:113], v[120:121]
	v_fmac_f64_e32 v[110:111], s[16:17], v[84:85]
	v_mul_f64 v[74:75], v[74:75], s[36:37]
	v_fma_f64 v[120:121], s[0:1], v[86:87], v[72:73]
	v_fma_f64 v[72:73], v[86:87], s[0:1], -v[72:73]
	v_add_f64 v[110:111], v[110:111], v[118:119]
	v_fma_f64 v[118:119], v[84:85], s[0:1], -v[74:75]
	v_fmac_f64_e32 v[74:75], s[0:1], v[84:85]
	v_add_f64 v[72:73], v[72:73], v[78:79]
	v_add_f64 v[78:79], v[62:63], v[66:67]
	v_add_f64 v[62:63], v[62:63], -v[66:67]
	v_add_f64 v[74:75], v[74:75], v[76:77]
	v_add_f64 v[76:77], v[60:61], v[64:65]
	v_add_f64 v[60:61], v[60:61], -v[64:65]
	v_mul_f64 v[64:65], v[62:63], s[18:19]
	v_fma_f64 v[66:67], v[76:77], s[16:17], -v[64:65]
	v_add_f64 v[66:67], v[66:67], v[82:83]
	v_mul_f64 v[82:83], v[60:61], s[18:19]
	v_fmac_f64_e32 v[64:65], s[16:17], v[76:77]
	v_fma_f64 v[84:85], s[16:17], v[78:79], v[82:83]
	v_add_f64 v[64:65], v[64:65], v[80:81]
	v_fma_f64 v[80:81], v[78:79], s[16:17], -v[82:83]
	v_mul_f64 v[82:83], v[62:63], s[30:31]
	v_add_f64 v[108:109], v[108:109], v[116:117]
	v_fma_f64 v[116:117], s[16:17], v[86:87], v[114:115]
	v_fma_f64 v[114:115], v[86:87], s[16:17], -v[114:115]
	v_fma_f64 v[86:87], v[76:77], s[26:27], -v[82:83]
	v_fmac_f64_e32 v[82:83], s[26:27], v[76:77]
	s_mov_b32 s39, 0x3fed1bb4
	s_mov_b32 s38, s20
	v_add_f64 v[80:81], v[80:81], v[88:89]
	v_mul_f64 v[88:89], v[60:61], s[30:31]
	v_add_f64 v[82:83], v[82:83], v[90:91]
	v_mul_f64 v[90:91], v[62:63], s[38:39]
	v_add_f64 v[84:85], v[84:85], v[94:95]
	v_add_f64 v[86:87], v[86:87], v[96:97]
	v_fma_f64 v[94:95], s[26:27], v[78:79], v[88:89]
	v_fma_f64 v[88:89], v[78:79], s[26:27], -v[88:89]
	v_fma_f64 v[96:97], v[76:77], s[14:15], -v[90:91]
	v_fmac_f64_e32 v[90:91], s[14:15], v[76:77]
	v_add_f64 v[88:89], v[88:89], v[98:99]
	v_mul_f64 v[98:99], v[60:61], s[38:39]
	v_add_f64 v[90:91], v[90:91], v[102:103]
	v_mul_f64 v[102:103], v[62:63], s[12:13]
	v_add_f64 v[94:95], v[94:95], v[100:101]
	v_add_f64 v[96:97], v[96:97], v[104:105]
	v_fma_f64 v[100:101], s[14:15], v[78:79], v[98:99]
	v_fma_f64 v[98:99], v[78:79], s[14:15], -v[98:99]
	v_fma_f64 v[104:105], v[76:77], s[0:1], -v[102:103]
	v_fmac_f64_e32 v[102:103], s[0:1], v[76:77]
	v_mul_f64 v[62:63], v[62:63], s[24:25]
	v_add_f64 v[98:99], v[98:99], v[106:107]
	v_mul_f64 v[106:107], v[60:61], s[12:13]
	v_add_f64 v[102:103], v[102:103], v[110:111]
	v_fma_f64 v[110:111], v[76:77], s[22:23], -v[62:63]
	v_mul_f64 v[60:61], v[60:61], s[24:25]
	v_fmac_f64_e32 v[62:63], s[22:23], v[76:77]
	v_add_f64 v[104:105], v[104:105], v[112:113]
	v_fma_f64 v[112:113], s[22:23], v[78:79], v[60:61]
	v_add_f64 v[62:63], v[62:63], v[74:75]
	v_fma_f64 v[60:61], v[78:79], s[22:23], -v[60:61]
	v_add_f64 v[74:75], v[58:59], v[42:43]
	v_add_f64 v[42:43], v[58:59], -v[42:43]
	v_add_f64 v[60:61], v[60:61], v[72:73]
	v_add_f64 v[72:73], v[56:57], v[40:41]
	v_add_f64 v[40:41], v[56:57], -v[40:41]
	v_mul_f64 v[56:57], v[42:43], s[24:25]
	v_fma_f64 v[58:59], v[72:73], s[22:23], -v[56:57]
	v_add_f64 v[58:59], v[58:59], v[66:67]
	v_mul_f64 v[66:67], v[40:41], s[24:25]
	v_fmac_f64_e32 v[56:57], s[22:23], v[72:73]
	v_fma_f64 v[76:77], s[22:23], v[74:75], v[66:67]
	v_add_f64 v[56:57], v[56:57], v[64:65]
	v_fma_f64 v[64:65], v[74:75], s[22:23], -v[66:67]
	v_mul_f64 v[66:67], v[42:43], s[34:35]
	v_add_f64 v[100:101], v[100:101], v[108:109]
	v_fma_f64 v[108:109], s[0:1], v[78:79], v[106:107]
	v_fma_f64 v[106:107], v[78:79], s[0:1], -v[106:107]
	v_add_f64 v[64:65], v[64:65], v[80:81]
	v_fma_f64 v[78:79], v[72:73], s[16:17], -v[66:67]
	v_mul_f64 v[80:81], v[40:41], s[34:35]
	v_fmac_f64_e32 v[66:67], s[16:17], v[72:73]
	v_add_f64 v[76:77], v[76:77], v[84:85]
	v_fma_f64 v[84:85], s[16:17], v[74:75], v[80:81]
	v_add_f64 v[66:67], v[66:67], v[82:83]
	v_fma_f64 v[80:81], v[74:75], s[16:17], -v[80:81]
	v_mul_f64 v[82:83], v[42:43], s[12:13]
	v_add_f64 v[78:79], v[78:79], v[86:87]
	v_add_f64 v[80:81], v[80:81], v[88:89]
	v_fma_f64 v[86:87], v[72:73], s[0:1], -v[82:83]
	v_mul_f64 v[88:89], v[40:41], s[12:13]
	v_fmac_f64_e32 v[82:83], s[0:1], v[72:73]
	v_add_f64 v[84:85], v[84:85], v[94:95]
	v_fma_f64 v[94:95], s[0:1], v[74:75], v[88:89]
	v_add_f64 v[82:83], v[82:83], v[90:91]
	v_fma_f64 v[88:89], v[74:75], s[0:1], -v[88:89]
	v_mul_f64 v[90:91], v[42:43], s[28:29]
	v_add_f64 v[86:87], v[86:87], v[96:97]
	v_add_f64 v[88:89], v[88:89], v[98:99]
	v_fma_f64 v[96:97], v[72:73], s[26:27], -v[90:91]
	v_mul_f64 v[98:99], v[40:41], s[28:29]
	v_mul_f64 v[40:41], v[40:41], s[38:39]
	v_add_f64 v[94:95], v[94:95], v[100:101]
	v_add_f64 v[96:97], v[96:97], v[104:105]
	v_fma_f64 v[100:101], s[26:27], v[74:75], v[98:99]
	v_fmac_f64_e32 v[90:91], s[26:27], v[72:73]
	v_fma_f64 v[98:99], v[74:75], s[26:27], -v[98:99]
	v_mul_f64 v[42:43], v[42:43], s[38:39]
	v_fma_f64 v[104:105], s[14:15], v[74:75], v[40:41]
	v_fma_f64 v[40:41], v[74:75], s[14:15], -v[40:41]
	v_add_f64 v[74:75], v[2:3], v[22:23]
	v_add_f64 v[2:3], v[2:3], -v[22:23]
	v_add_f64 v[90:91], v[90:91], v[102:103]
	v_fma_f64 v[102:103], v[72:73], s[14:15], -v[42:43]
	v_fmac_f64_e32 v[42:43], s[14:15], v[72:73]
	v_add_f64 v[72:73], v[0:1], v[20:21]
	v_add_f64 v[0:1], v[0:1], -v[20:21]
	v_mul_f64 v[20:21], v[2:3], s[28:29]
	v_fma_f64 v[22:23], v[72:73], s[26:27], -v[20:21]
	v_add_f64 v[60:61], v[40:41], v[60:61]
	v_add_f64 v[40:41], v[22:23], v[58:59]
	v_mul_f64 v[22:23], v[0:1], s[28:29]
	v_fmac_f64_e32 v[20:21], s[26:27], v[72:73]
	v_add_f64 v[142:143], v[20:21], v[56:57]
	v_fma_f64 v[20:21], v[74:75], s[26:27], -v[22:23]
	v_add_f64 v[144:145], v[20:21], v[64:65]
	v_mul_f64 v[20:21], v[2:3], s[36:37]
	v_add_f64 v[62:63], v[42:43], v[62:63]
	v_fma_f64 v[42:43], s[26:27], v[74:75], v[22:23]
	v_fma_f64 v[22:23], v[72:73], s[0:1], -v[20:21]
	v_add_f64 v[146:147], v[22:23], v[78:79]
	v_mul_f64 v[22:23], v[0:1], s[36:37]
	v_fmac_f64_e32 v[20:21], s[0:1], v[72:73]
	v_add_f64 v[150:151], v[20:21], v[66:67]
	v_fma_f64 v[20:21], v[74:75], s[0:1], -v[22:23]
	v_add_f64 v[152:153], v[20:21], v[80:81]
	v_mul_f64 v[20:21], v[2:3], s[24:25]
	v_fma_f64 v[56:57], s[0:1], v[74:75], v[22:23]
	v_fma_f64 v[22:23], v[72:73], s[22:23], -v[20:21]
	v_add_f64 v[154:155], v[22:23], v[86:87]
	v_mul_f64 v[22:23], v[0:1], s[24:25]
	v_fmac_f64_e32 v[20:21], s[22:23], v[72:73]
	v_add_f64 v[158:159], v[20:21], v[82:83]
	v_fma_f64 v[20:21], v[74:75], s[22:23], -v[22:23]
	v_add_f64 v[160:161], v[20:21], v[88:89]
	v_mul_f64 v[20:21], v[2:3], s[38:39]
	v_add_f64 v[114:115], v[114:115], v[122:123]
	v_add_f64 v[148:149], v[56:57], v[84:85]
	v_fma_f64 v[56:57], s[22:23], v[74:75], v[22:23]
	v_fma_f64 v[22:23], v[72:73], s[14:15], -v[20:21]
	v_add_f64 v[116:117], v[116:117], v[124:125]
	v_add_f64 v[118:119], v[118:119], v[126:127]
	;; [unrolled: 1-line block ×4, first 2 shown]
	v_mul_f64 v[22:23], v[0:1], s[38:39]
	v_fmac_f64_e32 v[20:21], s[14:15], v[72:73]
	v_add_f64 v[108:109], v[108:109], v[116:117]
	v_add_f64 v[110:111], v[110:111], v[118:119]
	;; [unrolled: 1-line block ×4, first 2 shown]
	v_fma_f64 v[20:21], v[74:75], s[14:15], -v[22:23]
	v_mul_f64 v[2:3], v[2:3], s[18:19]
	v_add_f64 v[100:101], v[100:101], v[108:109]
	v_add_f64 v[102:103], v[102:103], v[110:111]
	;; [unrolled: 1-line block ×3, first 2 shown]
	v_fma_f64 v[56:57], s[14:15], v[74:75], v[22:23]
	v_add_f64 v[168:169], v[20:21], v[98:99]
	v_fma_f64 v[20:21], v[72:73], s[16:17], -v[2:3]
	v_mul_f64 v[0:1], v[0:1], s[18:19]
	v_add_f64 v[98:99], v[10:11], -v[54:55]
	v_add_f64 v[120:121], v[120:121], v[128:129]
	v_add_f64 v[164:165], v[56:57], v[100:101]
	;; [unrolled: 1-line block ×3, first 2 shown]
	v_fma_f64 v[20:21], s[16:17], v[74:75], v[0:1]
	v_fma_f64 v[0:1], v[74:75], s[16:17], -v[0:1]
	v_add_f64 v[74:75], v[8:9], v[52:53]
	v_add_f64 v[82:83], v[8:9], -v[52:53]
	v_mul_f64 v[56:57], v[98:99], s[12:13]
	v_add_f64 v[114:115], v[14:15], -v[50:51]
	v_add_f64 v[112:113], v[112:113], v[120:121]
	v_fmac_f64_e32 v[2:3], s[16:17], v[72:73]
	v_add_f64 v[176:177], v[0:1], v[60:61]
	v_add_f64 v[108:109], v[10:11], v[54:55]
	v_mul_f64 v[58:59], v[82:83], s[12:13]
	v_fma_f64 v[0:1], s[0:1], v[74:75], v[56:57]
	v_add_f64 v[86:87], v[12:13], v[48:49]
	v_add_f64 v[96:97], v[12:13], -v[48:49]
	v_mul_f64 v[60:61], v[114:115], s[20:21]
	v_add_f64 v[104:105], v[104:105], v[112:113]
	v_add_f64 v[174:175], v[2:3], v[62:63]
	;; [unrolled: 1-line block ×3, first 2 shown]
	v_fma_f64 v[2:3], v[108:109], s[0:1], -v[58:59]
	v_mul_f64 v[62:63], v[98:99], s[20:21]
	v_add_f64 v[120:121], v[14:15], v[50:51]
	v_mul_f64 v[64:65], v[96:97], s[20:21]
	v_fma_f64 v[66:67], s[14:15], v[86:87], v[60:61]
	v_add_f64 v[42:43], v[42:43], v[76:77]
	v_add_f64 v[172:173], v[20:21], v[104:105]
	v_add_f64 v[2:3], v[6:7], v[2:3]
	v_mul_f64 v[72:73], v[82:83], s[20:21]
	v_fma_f64 v[20:21], s[14:15], v[74:75], v[62:63]
	v_add_f64 v[0:1], v[66:67], v[0:1]
	v_fma_f64 v[66:67], v[120:121], s[14:15], -v[64:65]
	v_mul_f64 v[76:77], v[114:115], s[24:25]
	v_add_f64 v[20:21], v[4:5], v[20:21]
	v_fma_f64 v[22:23], v[108:109], s[14:15], -v[72:73]
	v_add_f64 v[2:3], v[66:67], v[2:3]
	v_mul_f64 v[84:85], v[96:97], s[24:25]
	v_fma_f64 v[66:67], s[22:23], v[86:87], v[76:77]
	v_add_f64 v[22:23], v[6:7], v[22:23]
	v_add_f64 v[20:21], v[66:67], v[20:21]
	v_fma_f64 v[66:67], v[120:121], s[22:23], -v[84:85]
	v_add_f64 v[128:129], v[18:19], -v[46:47]
	v_add_f64 v[22:23], v[66:67], v[22:23]
	v_add_f64 v[102:103], v[16:17], v[44:45]
	v_add_f64 v[110:111], v[16:17], -v[44:45]
	v_mul_f64 v[66:67], v[128:129], s[18:19]
	v_add_f64 v[130:131], v[18:19], v[46:47]
	v_mul_f64 v[78:79], v[110:111], s[18:19]
	v_fma_f64 v[80:81], s[16:17], v[102:103], v[66:67]
	v_add_f64 v[0:1], v[80:81], v[0:1]
	v_fma_f64 v[80:81], v[130:131], s[16:17], -v[78:79]
	v_mul_f64 v[88:89], v[128:129], s[30:31]
	v_add_f64 v[2:3], v[80:81], v[2:3]
	v_mul_f64 v[100:101], v[110:111], s[30:31]
	v_fma_f64 v[80:81], s[26:27], v[102:103], v[88:89]
	v_add_f64 v[20:21], v[80:81], v[20:21]
	v_fma_f64 v[80:81], v[130:131], s[26:27], -v[100:101]
	v_add_f64 v[134:135], v[26:27], -v[38:39]
	v_add_f64 v[22:23], v[80:81], v[22:23]
	v_add_f64 v[116:117], v[24:25], v[36:37]
	v_add_f64 v[124:125], v[24:25], -v[36:37]
	v_mul_f64 v[80:81], v[134:135], s[24:25]
	v_add_f64 v[136:137], v[26:27], v[38:39]
	v_mul_f64 v[90:91], v[124:125], s[24:25]
	v_fma_f64 v[94:95], s[22:23], v[116:117], v[80:81]
	v_add_f64 v[0:1], v[94:95], v[0:1]
	v_fma_f64 v[94:95], v[136:137], s[22:23], -v[90:91]
	v_mul_f64 v[104:105], v[134:135], s[34:35]
	v_add_f64 v[2:3], v[94:95], v[2:3]
	v_mul_f64 v[112:113], v[124:125], s[34:35]
	v_fma_f64 v[94:95], s[16:17], v[116:117], v[104:105]
	v_add_f64 v[138:139], v[30:31], -v[34:35]
	v_add_f64 v[178:179], v[94:95], v[20:21]
	v_fma_f64 v[20:21], v[136:137], s[16:17], -v[112:113]
	v_add_f64 v[126:127], v[28:29], v[32:33]
	v_add_f64 v[132:133], v[28:29], -v[32:33]
	v_mul_f64 v[94:95], v[138:139], s[28:29]
	v_add_f64 v[180:181], v[20:21], v[22:23]
	v_add_f64 v[140:141], v[30:31], v[34:35]
	v_mul_f64 v[106:107], v[132:133], s[28:29]
	v_fma_f64 v[20:21], s[26:27], v[126:127], v[94:95]
	v_add_f64 v[20:21], v[20:21], v[0:1]
	v_fma_f64 v[0:1], v[140:141], s[26:27], -v[106:107]
	v_mul_f64 v[118:119], v[138:139], s[36:37]
	v_mul_f64 v[122:123], v[132:133], s[36:37]
	v_lshl_add_u64 v[192:193], v[218:219], 0, 55
	v_add_f64 v[22:23], v[0:1], v[2:3]
	v_fma_f64 v[0:1], s[0:1], v[126:127], v[118:119]
	v_fma_f64 v[2:3], v[140:141], s[0:1], -v[122:123]
	v_mul_lo_u16_e32 v93, 11, v218
	v_add_f64 v[0:1], v[0:1], v[178:179]
	v_add_f64 v[2:3], v[2:3], v[180:181]
	v_lshlrev_b32_e32 v93, 4, v93
	v_mul_u32_u24_e32 v221, 11, v192
	s_waitcnt lgkmcnt(0)
	; wave barrier
	ds_write_b128 v93, v[68:71]
	ds_write_b128 v93, v[40:43] offset:16
	ds_write_b128 v93, v[146:149] offset:32
	ds_write_b128 v93, v[154:157] offset:48
	ds_write_b128 v93, v[162:165] offset:64
	ds_write_b128 v93, v[170:173] offset:80
	ds_write_b128 v93, v[174:177] offset:96
	ds_write_b128 v93, v[166:169] offset:112
	ds_write_b128 v93, v[158:161] offset:128
	ds_write_b128 v93, v[150:153] offset:144
	ds_write_b128 v93, v[142:145] offset:160
	s_and_saveexec_b64 s[40:41], vcc
	s_cbranch_execz .LBB0_7
; %bb.6:
	v_mul_f64 v[190:191], v[108:109], s[26:27]
	v_mul_f64 v[146:147], v[120:121], s[0:1]
	v_fma_f64 v[194:195], s[30:31], v[82:83], v[190:191]
	v_fmac_f64_e32 v[190:191], s[28:29], v[82:83]
	v_mul_f64 v[142:143], v[130:131], s[22:23]
	s_mov_b32 s43, 0x3fe82f19
	s_mov_b32 s42, s24
	v_fma_f64 v[148:149], s[12:13], v[96:97], v[146:147]
	v_add_f64 v[194:195], v[6:7], v[194:195]
	v_mul_f64 v[204:205], v[98:99], s[28:29]
	v_fmac_f64_e32 v[146:147], s[36:37], v[96:97]
	v_add_f64 v[190:191], v[6:7], v[190:191]
	v_mul_f64 v[70:71], v[136:137], s[14:15]
	v_fma_f64 v[144:145], s[42:43], v[110:111], v[142:143]
	v_add_f64 v[148:149], v[148:149], v[194:195]
	v_mul_f64 v[200:201], v[114:115], s[36:37]
	v_fma_f64 v[206:207], s[26:27], v[74:75], v[204:205]
	v_fmac_f64_e32 v[142:143], s[24:25], v[110:111]
	v_add_f64 v[146:147], v[146:147], v[190:191]
	v_mul_f64 v[68:69], v[140:141], s[16:17]
	v_fma_f64 v[42:43], s[20:21], v[124:125], v[70:71]
	v_add_f64 v[144:145], v[144:145], v[148:149]
	v_mul_f64 v[148:149], v[134:135], s[38:39]
	v_mul_f64 v[196:197], v[128:129], s[24:25]
	v_fma_f64 v[202:203], s[0:1], v[86:87], v[200:201]
	v_add_f64 v[206:207], v[4:5], v[206:207]
	v_fmac_f64_e32 v[70:71], s[38:39], v[124:125]
	v_add_f64 v[142:143], v[142:143], v[146:147]
	v_fma_f64 v[40:41], s[34:35], v[132:133], v[68:69]
	v_add_f64 v[42:43], v[42:43], v[144:145]
	v_mul_f64 v[144:145], v[138:139], s[18:19]
	v_fma_f64 v[194:195], s[14:15], v[116:117], v[148:149]
	v_fma_f64 v[198:199], s[22:23], v[102:103], v[196:197]
	v_add_f64 v[202:203], v[202:203], v[206:207]
	v_fmac_f64_e32 v[68:69], s[18:19], v[132:133]
	v_add_f64 v[70:71], v[70:71], v[142:143]
	v_fma_f64 v[142:143], v[116:117], s[14:15], -v[148:149]
	v_fma_f64 v[146:147], v[86:87], s[0:1], -v[200:201]
	v_fma_f64 v[148:149], v[74:75], s[26:27], -v[204:205]
	v_mul_f64 v[200:201], v[108:109], s[22:23]
	v_add_f64 v[42:43], v[40:41], v[42:43]
	v_fma_f64 v[40:41], s[16:17], v[126:127], v[144:145]
	v_add_f64 v[198:199], v[198:199], v[202:203]
	v_add_f64 v[70:71], v[68:69], v[70:71]
	v_fma_f64 v[68:69], v[126:127], s[16:17], -v[144:145]
	v_fma_f64 v[144:145], v[102:103], s[22:23], -v[196:197]
	v_add_f64 v[148:149], v[4:5], v[148:149]
	v_mul_f64 v[196:197], v[120:121], s[16:17]
	v_fma_f64 v[202:203], s[42:43], v[82:83], v[200:201]
	v_fmac_f64_e32 v[200:201], s[24:25], v[82:83]
	v_add_f64 v[194:195], v[194:195], v[198:199]
	v_add_f64 v[146:147], v[146:147], v[148:149]
	v_mul_f64 v[190:191], v[130:131], s[0:1]
	v_fma_f64 v[198:199], s[18:19], v[96:97], v[196:197]
	v_add_f64 v[202:203], v[6:7], v[202:203]
	v_mul_f64 v[212:213], v[98:99], s[24:25]
	v_fmac_f64_e32 v[196:197], s[34:35], v[96:97]
	v_add_f64 v[200:201], v[6:7], v[200:201]
	v_add_f64 v[40:41], v[40:41], v[194:195]
	;; [unrolled: 1-line block ×3, first 2 shown]
	v_mul_f64 v[148:149], v[136:137], s[26:27]
	v_fma_f64 v[194:195], s[36:37], v[110:111], v[190:191]
	v_add_f64 v[198:199], v[198:199], v[202:203]
	v_mul_f64 v[208:209], v[114:115], s[34:35]
	v_fma_f64 v[214:215], s[22:23], v[74:75], v[212:213]
	v_fmac_f64_e32 v[190:191], s[12:13], v[110:111]
	v_add_f64 v[196:197], v[196:197], v[200:201]
	v_add_f64 v[142:143], v[142:143], v[144:145]
	v_fma_f64 v[144:145], s[30:31], v[124:125], v[148:149]
	v_add_f64 v[194:195], v[194:195], v[198:199]
	v_mul_f64 v[198:199], v[134:135], s[28:29]
	v_mul_f64 v[204:205], v[128:129], s[12:13]
	v_fma_f64 v[210:211], s[16:17], v[86:87], v[208:209]
	v_add_f64 v[214:215], v[4:5], v[214:215]
	v_fmac_f64_e32 v[148:149], s[28:29], v[124:125]
	v_add_f64 v[190:191], v[190:191], v[196:197]
	v_mul_f64 v[146:147], v[140:141], s[14:15]
	v_fma_f64 v[202:203], s[26:27], v[116:117], v[198:199]
	v_fma_f64 v[206:207], s[0:1], v[102:103], v[204:205]
	v_add_f64 v[210:211], v[210:211], v[214:215]
	v_add_f64 v[148:149], v[148:149], v[190:191]
	v_fma_f64 v[190:191], v[116:117], s[26:27], -v[198:199]
	v_fma_f64 v[198:199], v[74:75], s[22:23], -v[212:213]
	v_mul_f64 v[152:153], v[108:109], s[0:1]
	v_mul_f64 v[156:157], v[108:109], s[14:15]
	v_add_f64 v[68:69], v[68:69], v[142:143]
	v_fma_f64 v[142:143], s[20:21], v[132:133], v[146:147]
	v_add_f64 v[144:145], v[144:145], v[194:195]
	v_mul_f64 v[194:195], v[138:139], s[38:39]
	v_add_f64 v[206:207], v[206:207], v[210:211]
	v_fmac_f64_e32 v[146:147], s[38:39], v[132:133]
	v_fma_f64 v[196:197], v[86:87], s[16:17], -v[208:209]
	v_add_f64 v[198:199], v[4:5], v[198:199]
	v_mul_f64 v[108:109], v[108:109], s[16:17]
	v_mul_f64 v[160:161], v[120:121], s[14:15]
	;; [unrolled: 1-line block ×3, first 2 shown]
	v_add_f64 v[144:145], v[142:143], v[144:145]
	v_fma_f64 v[142:143], s[14:15], v[126:127], v[194:195]
	v_add_f64 v[202:203], v[202:203], v[206:207]
	v_add_f64 v[148:149], v[146:147], v[148:149]
	v_fma_f64 v[146:147], v[126:127], s[14:15], -v[194:195]
	v_fma_f64 v[194:195], v[102:103], s[0:1], -v[204:205]
	v_add_f64 v[196:197], v[196:197], v[198:199]
	v_mul_f64 v[120:121], v[120:121], s[26:27]
	v_fma_f64 v[200:201], s[34:35], v[82:83], v[108:109]
	v_mul_f64 v[150:151], v[74:75], s[0:1]
	v_mul_f64 v[154:155], v[74:75], s[14:15]
	v_add_f64 v[142:143], v[142:143], v[202:203]
	v_add_f64 v[194:195], v[194:195], v[196:197]
	v_mul_f64 v[196:197], v[130:131], s[14:15]
	v_fma_f64 v[198:199], s[28:29], v[96:97], v[120:121]
	v_add_f64 v[200:201], v[6:7], v[200:201]
	v_mul_f64 v[202:203], v[98:99], s[18:19]
	v_mul_f64 v[168:169], v[130:131], s[16:17]
	;; [unrolled: 1-line block ×3, first 2 shown]
	v_fma_f64 v[130:131], s[20:21], v[110:111], v[196:197]
	v_add_f64 v[198:199], v[198:199], v[200:201]
	v_mul_f64 v[114:115], v[114:115], s[30:31]
	v_fma_f64 v[98:99], s[16:17], v[74:75], v[202:203]
	v_fmac_f64_e32 v[108:109], s[18:19], v[82:83]
	v_fma_f64 v[74:75], v[74:75], s[16:17], -v[202:203]
	v_add_f64 v[72:73], v[72:73], v[156:157]
	v_add_f64 v[62:63], v[154:155], -v[62:63]
	v_add_f64 v[58:59], v[58:59], v[152:153]
	v_add_f64 v[56:57], v[150:151], -v[56:57]
	v_mul_f64 v[176:177], v[136:137], s[22:23]
	v_mul_f64 v[180:181], v[136:137], s[16:17]
	;; [unrolled: 1-line block ×3, first 2 shown]
	v_add_f64 v[130:131], v[130:131], v[198:199]
	v_mul_f64 v[198:199], v[128:129], s[38:39]
	v_fma_f64 v[200:201], s[26:27], v[86:87], v[114:115]
	v_add_f64 v[98:99], v[4:5], v[98:99]
	v_fmac_f64_e32 v[120:121], s[30:31], v[96:97]
	v_add_f64 v[82:83], v[6:7], v[108:109]
	v_add_f64 v[74:75], v[4:5], v[74:75]
	v_add_f64 v[72:73], v[6:7], v[72:73]
	v_add_f64 v[62:63], v[4:5], v[62:63]
	v_add_f64 v[58:59], v[6:7], v[58:59]
	v_add_f64 v[56:57], v[4:5], v[56:57]
	v_add_f64 v[6:7], v[6:7], v[10:11]
	v_add_f64 v[4:5], v[4:5], v[8:9]
	v_mul_f64 v[158:159], v[86:87], s[14:15]
	v_mul_f64 v[162:163], v[86:87], s[22:23]
	;; [unrolled: 1-line block ×4, first 2 shown]
	v_add_f64 v[190:191], v[190:191], v[194:195]
	v_mul_f64 v[140:141], v[140:141], s[22:23]
	v_fma_f64 v[194:195], s[36:37], v[124:125], v[136:137]
	v_mul_f64 v[134:135], v[134:135], s[12:13]
	v_fma_f64 v[128:129], s[14:15], v[102:103], v[198:199]
	v_add_f64 v[98:99], v[200:201], v[98:99]
	v_fmac_f64_e32 v[196:197], s[38:39], v[110:111]
	v_add_f64 v[82:83], v[120:121], v[82:83]
	v_fma_f64 v[86:87], v[86:87], s[26:27], -v[114:115]
	v_add_f64 v[6:7], v[6:7], v[14:15]
	v_add_f64 v[4:5], v[4:5], v[12:13]
	v_mul_f64 v[166:167], v[102:103], s[16:17]
	v_mul_f64 v[170:171], v[102:103], s[26:27]
	v_add_f64 v[146:147], v[146:147], v[190:191]
	v_fma_f64 v[190:191], s[42:43], v[132:133], v[140:141]
	v_add_f64 v[130:131], v[194:195], v[130:131]
	v_mul_f64 v[138:139], v[138:139], s[24:25]
	v_fma_f64 v[194:195], s[0:1], v[116:117], v[134:135]
	v_add_f64 v[98:99], v[128:129], v[98:99]
	v_fmac_f64_e32 v[136:137], s[12:13], v[124:125]
	v_add_f64 v[82:83], v[196:197], v[82:83]
	v_fma_f64 v[102:103], v[102:103], s[14:15], -v[198:199]
	v_add_f64 v[74:75], v[86:87], v[74:75]
	v_add_f64 v[6:7], v[6:7], v[18:19]
	;; [unrolled: 1-line block ×4, first 2 shown]
	v_fma_f64 v[190:191], s[22:23], v[126:127], v[138:139]
	v_add_f64 v[98:99], v[194:195], v[98:99]
	v_fmac_f64_e32 v[140:141], s[24:25], v[132:133]
	v_add_f64 v[82:83], v[136:137], v[82:83]
	v_fma_f64 v[96:97], v[116:117], s[0:1], -v[134:135]
	v_add_f64 v[74:75], v[102:103], v[74:75]
	v_add_f64 v[84:85], v[84:85], v[164:165]
	;; [unrolled: 1-line block ×6, first 2 shown]
	v_fma_f64 v[82:83], v[126:127], s[22:23], -v[138:139]
	v_add_f64 v[74:75], v[96:97], v[74:75]
	v_add_f64 v[86:87], v[100:101], v[172:173]
	;; [unrolled: 1-line block ×3, first 2 shown]
	v_add_f64 v[76:77], v[162:163], -v[76:77]
	v_add_f64 v[6:7], v[6:7], v[30:31]
	v_add_f64 v[4:5], v[4:5], v[28:29]
	v_mul_f64 v[178:179], v[116:117], s[16:17]
	v_add_f64 v[96:97], v[82:83], v[74:75]
	v_add_f64 v[82:83], v[112:113], v[180:181]
	;; [unrolled: 1-line block ×3, first 2 shown]
	v_add_f64 v[84:85], v[170:171], -v[88:89]
	v_add_f64 v[62:63], v[76:77], v[62:63]
	v_add_f64 v[64:65], v[64:65], v[160:161]
	;; [unrolled: 1-line block ×4, first 2 shown]
	v_mul_f64 v[186:187], v[126:127], s[0:1]
	v_add_f64 v[74:75], v[122:123], v[188:189]
	v_add_f64 v[72:73], v[82:83], v[72:73]
	v_add_f64 v[82:83], v[178:179], -v[104:105]
	v_add_f64 v[62:63], v[84:85], v[62:63]
	v_add_f64 v[78:79], v[78:79], v[168:169]
	;; [unrolled: 1-line block ×3, first 2 shown]
	v_add_f64 v[60:61], v[158:159], -v[60:61]
	v_add_f64 v[6:7], v[6:7], v[38:39]
	v_add_f64 v[4:5], v[4:5], v[36:37]
	v_mul_f64 v[174:175], v[116:117], s[22:23]
	v_add_f64 v[74:75], v[74:75], v[72:73]
	v_add_f64 v[72:73], v[186:187], -v[118:119]
	v_add_f64 v[62:63], v[82:83], v[62:63]
	v_add_f64 v[76:77], v[90:91], v[176:177]
	;; [unrolled: 1-line block ×3, first 2 shown]
	v_add_f64 v[66:67], v[166:167], -v[66:67]
	v_add_f64 v[56:57], v[60:61], v[56:57]
	v_add_f64 v[6:7], v[6:7], v[46:47]
	;; [unrolled: 1-line block ×3, first 2 shown]
	v_mul_f64 v[182:183], v[126:127], s[26:27]
	v_add_f64 v[72:73], v[72:73], v[62:63]
	v_add_f64 v[62:63], v[106:107], v[184:185]
	;; [unrolled: 1-line block ×3, first 2 shown]
	v_add_f64 v[64:65], v[174:175], -v[80:81]
	v_add_f64 v[56:57], v[66:67], v[56:57]
	v_add_f64 v[6:7], v[6:7], v[50:51]
	;; [unrolled: 1-line block ×4, first 2 shown]
	v_add_f64 v[62:63], v[182:183], -v[94:95]
	v_add_f64 v[56:57], v[64:65], v[56:57]
	v_add_f64 v[6:7], v[6:7], v[54:55]
	;; [unrolled: 1-line block ×3, first 2 shown]
	v_lshlrev_b32_e32 v8, 4, v221
	v_add_f64 v[56:57], v[62:63], v[56:57]
	ds_write_b128 v8, v[4:7]
	ds_write_b128 v8, v[56:59] offset:16
	ds_write_b128 v8, v[72:75] offset:32
	;; [unrolled: 1-line block ×10, first 2 shown]
.LBB0_7:
	s_or_b64 exec, exec, s[40:41]
	s_waitcnt lgkmcnt(0)
	; wave barrier
	s_waitcnt lgkmcnt(0)
	ds_read_b128 v[16:19], v92
	ds_read_b128 v[12:15], v92 offset:880
	ds_read_b128 v[168:171], v92 offset:3696
	;; [unrolled: 1-line block ×19, first 2 shown]
	v_cmp_gt_u16_e64 s[0:1], 11, v218
                                        ; implicit-def: $vgpr24_vgpr25
                                        ; implicit-def: $vgpr128_vgpr129
                                        ; implicit-def: $vgpr136_vgpr137
	s_and_saveexec_b64 s[12:13], s[0:1]
	s_cbranch_execz .LBB0_9
; %bb.8:
	ds_read_b128 v[0:3], v92 offset:3520
	ds_read_b128 v[20:23], v92 offset:7216
	;; [unrolled: 1-line block ×5, first 2 shown]
.LBB0_9:
	s_or_b64 exec, exec, s[12:13]
	s_movk_i32 s12, 0x75
	v_mul_lo_u16_sdwa v40, v218, s12 dst_sel:DWORD dst_unused:UNUSED_PAD src0_sel:BYTE_0 src1_sel:DWORD
	v_sub_u16_sdwa v41, v218, v40 dst_sel:DWORD dst_unused:UNUSED_PAD src0_sel:DWORD src1_sel:BYTE_1
	v_lshrrev_b16_e32 v41, 1, v41
	v_and_b32_e32 v41, 0x7f, v41
	v_add_u16_sdwa v40, v41, v40 dst_sel:DWORD dst_unused:UNUSED_PAD src0_sel:DWORD src1_sel:BYTE_1
	v_lshrrev_b16_e32 v76, 3, v40
	v_mul_lo_u16_e32 v40, 11, v76
	v_sub_u16_e32 v40, v218, v40
	v_and_b32_e32 v77, 0xff, v40
	v_lshlrev_b32_e32 v40, 6, v77
	v_mul_lo_u16_sdwa v41, v192, s12 dst_sel:DWORD dst_unused:UNUSED_PAD src0_sel:BYTE_0 src1_sel:DWORD
	global_load_dwordx4 v[80:83], v40, s[8:9]
	global_load_dwordx4 v[70:73], v40, s[8:9] offset:16
	global_load_dwordx4 v[52:55], v40, s[8:9] offset:48
	;; [unrolled: 1-line block ×3, first 2 shown]
	v_sub_u16_sdwa v40, v192, v41 dst_sel:DWORD dst_unused:UNUSED_PAD src0_sel:DWORD src1_sel:BYTE_1
	v_lshrrev_b16_e32 v40, 1, v40
	v_and_b32_e32 v40, 0x7f, v40
	v_add_u16_sdwa v40, v40, v41 dst_sel:DWORD dst_unused:UNUSED_PAD src0_sel:DWORD src1_sel:BYTE_1
	s_mov_b64 s[14:15], 0x6e
	v_lshrrev_b16_e32 v78, 3, v40
	v_lshl_add_u64 v[200:201], v[218:219], 0, s[14:15]
	v_mul_lo_u16_e32 v40, 11, v78
	v_mul_lo_u16_sdwa v41, v200, s12 dst_sel:DWORD dst_unused:UNUSED_PAD src0_sel:BYTE_0 src1_sel:DWORD
	v_sub_u16_e32 v40, v192, v40
	v_sub_u16_sdwa v42, v200, v41 dst_sel:DWORD dst_unused:UNUSED_PAD src0_sel:DWORD src1_sel:BYTE_1
	v_and_b32_e32 v79, 0xff, v40
	v_lshrrev_b16_e32 v42, 1, v42
	v_lshlrev_b32_e32 v40, 6, v79
	v_and_b32_e32 v42, 0x7f, v42
	global_load_dwordx4 v[56:59], v40, s[8:9] offset:16
	global_load_dwordx4 v[66:69], v40, s[8:9]
	global_load_dwordx4 v[118:121], v40, s[8:9] offset:48
	global_load_dwordx4 v[188:191], v40, s[8:9] offset:32
	v_add_u16_sdwa v40, v42, v41 dst_sel:DWORD dst_unused:UNUSED_PAD src0_sel:DWORD src1_sel:BYTE_1
	v_lshrrev_b16_e32 v84, 3, v40
	s_mov_b64 s[14:15], 0xa5
	v_mul_lo_u16_e32 v40, 11, v84
	v_lshl_add_u64 v[208:209], v[218:219], 0, s[14:15]
	v_sub_u16_e32 v40, v200, v40
	v_mul_lo_u16_sdwa v41, v208, s12 dst_sel:DWORD dst_unused:UNUSED_PAD src0_sel:BYTE_0 src1_sel:DWORD
	v_and_b32_e32 v85, 0xff, v40
	v_sub_u16_sdwa v42, v208, v41 dst_sel:DWORD dst_unused:UNUSED_PAD src0_sel:DWORD src1_sel:BYTE_1
	v_lshlrev_b32_e32 v40, 6, v85
	v_lshrrev_b16_e32 v42, 1, v42
	global_load_dwordx4 v[184:187], v40, s[8:9] offset:16
	global_load_dwordx4 v[194:197], v40, s[8:9]
	global_load_dwordx4 v[202:205], v40, s[8:9] offset:48
	global_load_dwordx4 v[210:213], v40, s[8:9] offset:32
	v_and_b32_e32 v40, 0x7f, v42
	v_add_u16_sdwa v40, v40, v41 dst_sel:DWORD dst_unused:UNUSED_PAD src0_sel:DWORD src1_sel:BYTE_1
	v_lshrrev_b16_e32 v86, 3, v40
	v_mul_lo_u16_e32 v40, 11, v86
	v_sub_u16_e32 v40, v208, v40
	v_and_b32_e32 v87, 0xff, v40
	s_mov_b64 s[12:13], 0xdc
	v_lshlrev_b32_e32 v40, 6, v87
	s_mov_b32 s14, 0xba2f
	v_lshl_add_u64 v[216:217], v[218:219], 0, s[12:13]
	global_load_dwordx4 v[240:243], v40, s[8:9]
	global_load_dwordx4 v[222:225], v40, s[8:9] offset:16
	global_load_dwordx4 v[244:247], v40, s[8:9] offset:48
	;; [unrolled: 1-line block ×3, first 2 shown]
	v_mul_u32_u24_sdwa v40, v216, s14 dst_sel:DWORD dst_unused:UNUSED_PAD src0_sel:WORD_0 src1_sel:DWORD
	v_lshrrev_b32_e32 v40, 19, v40
	v_mul_lo_u16_e32 v40, 11, v40
	v_sub_u16_e32 v88, v216, v40
	v_lshlrev_b16_e32 v40, 2, v88
	v_lshlrev_b32_e32 v40, 4, v40
	global_load_dwordx4 v[106:109], v40, s[8:9]
	global_load_dwordx4 v[114:117], v40, s[8:9] offset:16
	global_load_dwordx4 v[110:113], v40, s[8:9] offset:32
	;; [unrolled: 1-line block ×3, first 2 shown]
	s_mov_b32 s14, 0x134454ff
	s_mov_b32 s15, 0x3fee6f0e
	;; [unrolled: 1-line block ×10, first 2 shown]
	v_mul_u32_u24_e32 v76, 55, v76
	v_add_lshl_u32 v215, v76, v77, 4
	s_waitcnt lgkmcnt(0)
	; wave barrier
	s_waitcnt lgkmcnt(0)
	v_lshlrev_b32_e32 v214, 4, v88
	s_waitcnt vmcnt(18)
	v_accvgpr_write_b32 a83, v73
	s_waitcnt vmcnt(17)
	v_mul_f64 v[50:51], v[182:183], v[54:55]
	s_waitcnt vmcnt(16)
	v_accvgpr_write_b32 a75, v63
	v_accvgpr_write_b32 a67, v55
	v_mul_f64 v[44:45], v[174:175], v[72:73]
	v_mul_f64 v[48:49], v[172:173], v[72:73]
	;; [unrolled: 1-line block ×5, first 2 shown]
	v_accvgpr_write_b32 a82, v72
	v_accvgpr_write_b32 a81, v71
	;; [unrolled: 1-line block ×6, first 2 shown]
	v_fma_f64 v[98:99], v[180:181], v[52:53], -v[50:51]
	v_accvgpr_write_b32 a66, v54
	v_accvgpr_write_b32 a65, v53
	;; [unrolled: 1-line block ×3, first 2 shown]
	s_waitcnt vmcnt(14)
	v_accvgpr_write_b32 a79, v69
	v_mul_f64 v[50:51], v[162:163], v[58:59]
	v_mul_f64 v[54:55], v[160:161], v[58:59]
	v_accvgpr_write_b32 a71, v59
	v_fma_f64 v[96:97], v[176:177], v[60:61], -v[46:47]
	v_fmac_f64_e32 v[90:91], v[182:183], v[52:53]
	v_mul_f64 v[46:47], v[166:167], v[68:69]
	v_mul_f64 v[52:53], v[164:165], v[68:69]
	v_accvgpr_write_b32 a78, v68
	v_accvgpr_write_b32 a77, v67
	;; [unrolled: 1-line block ×3, first 2 shown]
	v_fma_f64 v[50:51], v[160:161], v[56:57], -v[50:51]
	s_waitcnt vmcnt(10)
	v_mul_f64 v[62:63], v[158:159], v[196:197]
	s_waitcnt vmcnt(8)
	v_mul_f64 v[72:73], v[142:143], v[212:213]
	v_accvgpr_write_b32 a70, v58
	v_accvgpr_write_b32 a69, v57
	v_accvgpr_write_b32 a68, v56
	v_fmac_f64_e32 v[54:55], v[162:163], v[56:57]
	v_mul_f64 v[56:57], v[154:155], v[190:191]
	v_fma_f64 v[62:63], v[156:157], v[194:195], -v[62:63]
	v_mul_f64 v[68:69], v[156:157], v[196:197]
	v_fma_f64 v[156:157], v[140:141], v[210:211], -v[72:73]
	v_mul_f64 v[72:73], v[134:135], v[204:205]
	v_fmac_f64_e32 v[64:65], v[178:179], v[60:61]
	v_fma_f64 v[60:61], v[152:153], v[188:189], -v[56:57]
	v_mul_f64 v[56:57], v[152:153], v[190:191]
	v_fmac_f64_e32 v[68:69], v[158:159], v[194:195]
	v_fma_f64 v[158:159], v[132:133], v[202:203], -v[72:73]
	s_waitcnt vmcnt(7)
	v_mul_f64 v[72:73], v[126:127], v[242:243]
	v_accvgpr_write_b32 a87, v83
	v_fmac_f64_e32 v[56:57], v[154:155], v[188:189]
	v_mul_f64 v[154:155], v[132:133], v[204:205]
	v_fma_f64 v[132:133], v[124:125], v[240:241], -v[72:73]
	s_waitcnt vmcnt(6)
	v_mul_f64 v[72:73], v[38:39], v[224:225]
	v_mul_f64 v[40:41], v[170:171], v[82:83]
	;; [unrolled: 1-line block ×3, first 2 shown]
	v_accvgpr_write_b32 a86, v82
	v_accvgpr_write_b32 a85, v81
	v_accvgpr_write_b32 a84, v80
	v_fma_f64 v[46:47], v[164:165], v[66:67], -v[46:47]
	v_fmac_f64_e32 v[52:53], v[166:167], v[66:67]
	v_mul_f64 v[66:67], v[150:151], v[186:187]
	v_fmac_f64_e32 v[154:155], v[134:135], v[202:203]
	v_fma_f64 v[134:135], v[36:37], v[222:223], -v[72:73]
	v_mul_f64 v[82:83], v[36:37], v[224:225]
	s_waitcnt vmcnt(4)
	v_mul_f64 v[36:37], v[34:35], v[250:251]
	v_fma_f64 v[40:41], v[168:169], v[80:81], -v[40:41]
	v_fmac_f64_e32 v[42:43], v[170:171], v[80:81]
	v_fma_f64 v[44:45], v[172:173], v[70:71], -v[44:45]
	v_fmac_f64_e32 v[48:49], v[174:175], v[70:71]
	v_fma_f64 v[66:67], v[148:149], v[184:185], -v[66:67]
	v_mul_f64 v[70:71], v[148:149], v[186:187]
	v_mul_f64 v[80:81], v[124:125], v[242:243]
	v_fma_f64 v[148:149], v[32:33], v[248:249], -v[36:37]
	v_mul_f64 v[124:125], v[32:33], v[250:251]
	v_mul_f64 v[32:33], v[30:31], v[246:247]
	v_fmac_f64_e32 v[70:71], v[150:151], v[184:185]
	v_fmac_f64_e32 v[80:81], v[126:127], v[240:241]
	v_fma_f64 v[150:151], v[28:29], v[244:245], -v[32:33]
	v_mul_f64 v[126:127], v[28:29], v[246:247]
	s_waitcnt vmcnt(3)
	v_mul_f64 v[28:29], v[22:23], v[108:109]
	v_fma_f64 v[72:73], v[20:21], v[106:107], -v[28:29]
	v_mul_f64 v[94:95], v[20:21], v[108:109]
	s_waitcnt vmcnt(2)
	v_mul_f64 v[20:21], v[26:27], v[116:117]
	v_fma_f64 v[74:75], v[24:25], v[114:115], -v[20:21]
	s_waitcnt vmcnt(1)
	v_mul_f64 v[20:21], v[130:131], v[112:113]
	v_mul_f64 v[58:59], v[146:147], v[120:121]
	;; [unrolled: 1-line block ×3, first 2 shown]
	v_fma_f64 v[140:141], v[128:129], v[110:111], -v[20:21]
	s_waitcnt vmcnt(0)
	v_mul_f64 v[20:21], v[138:139], v[104:105]
	v_fma_f64 v[100:101], v[144:145], v[118:119], -v[58:59]
	v_mul_f64 v[58:59], v[144:145], v[120:121]
	v_fma_f64 v[144:145], v[136:137], v[102:103], -v[20:21]
	v_add_f64 v[20:21], v[16:17], v[40:41]
	v_add_f64 v[20:21], v[20:21], v[44:45]
	;; [unrolled: 1-line block ×3, first 2 shown]
	v_fmac_f64_e32 v[152:153], v[142:143], v[210:211]
	v_mul_f64 v[142:143], v[24:25], v[116:117]
	v_add_f64 v[24:25], v[20:21], v[98:99]
	v_add_f64 v[20:21], v[44:45], v[96:97]
	v_fmac_f64_e32 v[94:95], v[22:23], v[106:107]
	v_fma_f64 v[20:21], -0.5, v[20:21], v[16:17]
	v_add_f64 v[22:23], v[42:43], -v[90:91]
	v_fmac_f64_e32 v[126:127], v[30:31], v[244:245]
	v_fmac_f64_e32 v[142:143], v[26:27], v[114:115]
	v_fma_f64 v[28:29], s[14:15], v[22:23], v[20:21]
	v_add_f64 v[26:27], v[48:49], -v[64:65]
	v_add_f64 v[30:31], v[40:41], -v[44:45]
	;; [unrolled: 1-line block ×3, first 2 shown]
	v_fmac_f64_e32 v[20:21], s[18:19], v[22:23]
	v_fmac_f64_e32 v[28:29], s[12:13], v[26:27]
	v_add_f64 v[30:31], v[30:31], v[32:33]
	v_fmac_f64_e32 v[20:21], s[20:21], v[26:27]
	v_fmac_f64_e32 v[28:29], s[16:17], v[30:31]
	;; [unrolled: 1-line block ×3, first 2 shown]
	v_add_f64 v[30:31], v[40:41], v[98:99]
	v_fmac_f64_e32 v[16:17], -0.5, v[30:31]
	v_fma_f64 v[32:33], s[18:19], v[26:27], v[16:17]
	v_fmac_f64_e32 v[16:17], s[14:15], v[26:27]
	v_fmac_f64_e32 v[32:33], s[12:13], v[22:23]
	;; [unrolled: 1-line block ×3, first 2 shown]
	v_add_f64 v[22:23], v[18:19], v[42:43]
	v_add_f64 v[22:23], v[22:23], v[48:49]
	;; [unrolled: 1-line block ×3, first 2 shown]
	v_fmac_f64_e32 v[124:125], v[34:35], v[248:249]
	v_add_f64 v[30:31], v[44:45], -v[40:41]
	v_add_f64 v[34:35], v[96:97], -v[98:99]
	v_add_f64 v[26:27], v[22:23], v[90:91]
	v_add_f64 v[22:23], v[48:49], v[64:65]
	;; [unrolled: 1-line block ×3, first 2 shown]
	v_fma_f64 v[22:23], -0.5, v[22:23], v[18:19]
	v_add_f64 v[36:37], v[40:41], -v[98:99]
	v_fmac_f64_e32 v[82:83], v[38:39], v[222:223]
	v_fmac_f64_e32 v[32:33], s[16:17], v[30:31]
	;; [unrolled: 1-line block ×3, first 2 shown]
	v_fma_f64 v[30:31], s[18:19], v[36:37], v[22:23]
	v_add_f64 v[38:39], v[44:45], -v[96:97]
	v_add_f64 v[34:35], v[42:43], -v[48:49]
	;; [unrolled: 1-line block ×3, first 2 shown]
	v_fmac_f64_e32 v[22:23], s[14:15], v[36:37]
	v_fmac_f64_e32 v[30:31], s[20:21], v[38:39]
	v_add_f64 v[34:35], v[34:35], v[40:41]
	v_fmac_f64_e32 v[22:23], s[12:13], v[38:39]
	v_fmac_f64_e32 v[30:31], s[16:17], v[34:35]
	;; [unrolled: 1-line block ×3, first 2 shown]
	v_add_f64 v[34:35], v[42:43], v[90:91]
	v_fmac_f64_e32 v[18:19], -0.5, v[34:35]
	v_fma_f64 v[34:35], s[14:15], v[38:39], v[18:19]
	v_fmac_f64_e32 v[18:19], s[18:19], v[38:39]
	v_fmac_f64_e32 v[34:35], s[20:21], v[36:37]
	;; [unrolled: 1-line block ×3, first 2 shown]
	v_add_f64 v[36:37], v[12:13], v[46:47]
	v_add_f64 v[40:41], v[48:49], -v[42:43]
	v_add_f64 v[42:43], v[64:65], -v[90:91]
	v_add_f64 v[36:37], v[36:37], v[50:51]
	v_add_f64 v[40:41], v[40:41], v[42:43]
	;; [unrolled: 1-line block ×3, first 2 shown]
	v_fmac_f64_e32 v[58:59], v[146:147], v[118:119]
	v_fmac_f64_e32 v[34:35], s[16:17], v[40:41]
	;; [unrolled: 1-line block ×3, first 2 shown]
	v_add_f64 v[40:41], v[36:37], v[100:101]
	v_add_f64 v[36:37], v[50:51], v[60:61]
	v_fma_f64 v[36:37], -0.5, v[36:37], v[12:13]
	v_add_f64 v[38:39], v[52:53], -v[58:59]
	v_fma_f64 v[44:45], s[14:15], v[38:39], v[36:37]
	v_add_f64 v[42:43], v[54:55], -v[56:57]
	v_add_f64 v[48:49], v[46:47], -v[50:51]
	;; [unrolled: 1-line block ×3, first 2 shown]
	v_fmac_f64_e32 v[36:37], s[18:19], v[38:39]
	v_fmac_f64_e32 v[44:45], s[12:13], v[42:43]
	v_add_f64 v[48:49], v[48:49], v[64:65]
	v_fmac_f64_e32 v[36:37], s[20:21], v[42:43]
	v_fmac_f64_e32 v[44:45], s[16:17], v[48:49]
	;; [unrolled: 1-line block ×3, first 2 shown]
	v_add_f64 v[48:49], v[46:47], v[100:101]
	v_fmac_f64_e32 v[12:13], -0.5, v[48:49]
	v_fma_f64 v[48:49], s[18:19], v[42:43], v[12:13]
	v_fmac_f64_e32 v[12:13], s[14:15], v[42:43]
	v_fmac_f64_e32 v[48:49], s[12:13], v[38:39]
	;; [unrolled: 1-line block ×3, first 2 shown]
	v_add_f64 v[38:39], v[14:15], v[52:53]
	v_add_f64 v[38:39], v[38:39], v[54:55]
	v_add_f64 v[64:65], v[50:51], -v[46:47]
	v_add_f64 v[90:91], v[60:61], -v[100:101]
	v_add_f64 v[38:39], v[38:39], v[56:57]
	v_add_f64 v[64:65], v[64:65], v[90:91]
	;; [unrolled: 1-line block ×4, first 2 shown]
	v_fmac_f64_e32 v[48:49], s[16:17], v[64:65]
	v_fmac_f64_e32 v[12:13], s[16:17], v[64:65]
	v_fma_f64 v[38:39], -0.5, v[38:39], v[14:15]
	v_add_f64 v[64:65], v[46:47], -v[100:101]
	v_fma_f64 v[46:47], s[18:19], v[64:65], v[38:39]
	v_add_f64 v[60:61], v[50:51], -v[60:61]
	v_add_f64 v[50:51], v[52:53], -v[54:55]
	;; [unrolled: 1-line block ×3, first 2 shown]
	v_fmac_f64_e32 v[38:39], s[14:15], v[64:65]
	v_fmac_f64_e32 v[46:47], s[20:21], v[60:61]
	v_add_f64 v[50:51], v[50:51], v[90:91]
	v_fmac_f64_e32 v[38:39], s[12:13], v[60:61]
	v_fmac_f64_e32 v[46:47], s[16:17], v[50:51]
	;; [unrolled: 1-line block ×3, first 2 shown]
	v_add_f64 v[50:51], v[52:53], v[58:59]
	v_fmac_f64_e32 v[14:15], -0.5, v[50:51]
	v_fma_f64 v[50:51], s[14:15], v[60:61], v[14:15]
	v_add_f64 v[52:53], v[54:55], -v[52:53]
	v_add_f64 v[54:55], v[56:57], -v[58:59]
	v_fmac_f64_e32 v[14:15], s[18:19], v[60:61]
	v_fmac_f64_e32 v[50:51], s[20:21], v[64:65]
	v_add_f64 v[52:53], v[52:53], v[54:55]
	v_fmac_f64_e32 v[14:15], s[12:13], v[64:65]
	v_fmac_f64_e32 v[50:51], s[16:17], v[52:53]
	;; [unrolled: 1-line block ×3, first 2 shown]
	v_add_f64 v[52:53], v[8:9], v[62:63]
	v_add_f64 v[52:53], v[52:53], v[66:67]
	;; [unrolled: 1-line block ×5, first 2 shown]
	v_fma_f64 v[52:53], -0.5, v[52:53], v[8:9]
	v_add_f64 v[54:55], v[68:69], -v[154:155]
	v_fma_f64 v[60:61], s[14:15], v[54:55], v[52:53]
	v_add_f64 v[58:59], v[70:71], -v[152:153]
	v_add_f64 v[64:65], v[62:63], -v[66:67]
	v_add_f64 v[90:91], v[158:159], -v[156:157]
	v_fmac_f64_e32 v[52:53], s[18:19], v[54:55]
	v_fmac_f64_e32 v[60:61], s[12:13], v[58:59]
	v_add_f64 v[64:65], v[64:65], v[90:91]
	v_fmac_f64_e32 v[52:53], s[20:21], v[58:59]
	v_fmac_f64_e32 v[60:61], s[16:17], v[64:65]
	v_fmac_f64_e32 v[52:53], s[16:17], v[64:65]
	v_add_f64 v[64:65], v[62:63], v[158:159]
	v_fmac_f64_e32 v[8:9], -0.5, v[64:65]
	v_fma_f64 v[64:65], s[18:19], v[58:59], v[8:9]
	v_fmac_f64_e32 v[8:9], s[14:15], v[58:59]
	v_fmac_f64_e32 v[64:65], s[12:13], v[54:55]
	v_fmac_f64_e32 v[8:9], s[20:21], v[54:55]
	v_add_f64 v[54:55], v[10:11], v[68:69]
	v_add_f64 v[54:55], v[54:55], v[70:71]
	v_add_f64 v[90:91], v[66:67], -v[62:63]
	v_add_f64 v[96:97], v[156:157], -v[158:159]
	v_add_f64 v[54:55], v[54:55], v[152:153]
	v_add_f64 v[90:91], v[90:91], v[96:97]
	;; [unrolled: 1-line block ×4, first 2 shown]
	v_fmac_f64_e32 v[64:65], s[16:17], v[90:91]
	v_fmac_f64_e32 v[8:9], s[16:17], v[90:91]
	v_fma_f64 v[54:55], -0.5, v[54:55], v[10:11]
	v_add_f64 v[90:91], v[62:63], -v[158:159]
	v_fma_f64 v[62:63], s[18:19], v[90:91], v[54:55]
	v_add_f64 v[96:97], v[66:67], -v[156:157]
	v_add_f64 v[66:67], v[68:69], -v[70:71]
	;; [unrolled: 1-line block ×3, first 2 shown]
	v_fmac_f64_e32 v[54:55], s[14:15], v[90:91]
	v_fmac_f64_e32 v[62:63], s[20:21], v[96:97]
	v_add_f64 v[66:67], v[66:67], v[98:99]
	v_fmac_f64_e32 v[54:55], s[12:13], v[96:97]
	v_fmac_f64_e32 v[62:63], s[16:17], v[66:67]
	v_fmac_f64_e32 v[54:55], s[16:17], v[66:67]
	v_add_f64 v[66:67], v[68:69], v[154:155]
	v_fmac_f64_e32 v[10:11], -0.5, v[66:67]
	v_fma_f64 v[66:67], s[14:15], v[96:97], v[10:11]
	v_add_f64 v[68:69], v[70:71], -v[68:69]
	v_add_f64 v[70:71], v[152:153], -v[154:155]
	v_fmac_f64_e32 v[10:11], s[18:19], v[96:97]
	v_fmac_f64_e32 v[66:67], s[20:21], v[90:91]
	v_add_f64 v[68:69], v[68:69], v[70:71]
	v_fmac_f64_e32 v[10:11], s[12:13], v[90:91]
	v_fmac_f64_e32 v[66:67], s[16:17], v[68:69]
	v_fmac_f64_e32 v[10:11], s[16:17], v[68:69]
	v_add_f64 v[68:69], v[4:5], v[132:133]
	v_add_f64 v[68:69], v[68:69], v[134:135]
	;; [unrolled: 1-line block ×5, first 2 shown]
	v_mul_f64 v[136:137], v[136:137], v[104:105]
	v_accvgpr_write_b32 a48, v102
	v_fma_f64 v[68:69], -0.5, v[68:69], v[4:5]
	v_add_f64 v[70:71], v[80:81], -v[126:127]
	v_accvgpr_write_b32 a49, v103
	v_accvgpr_write_b32 a50, v104
	v_accvgpr_write_b32 a51, v105
	v_fmac_f64_e32 v[136:137], v[138:139], v[102:103]
	v_fma_f64 v[100:101], s[14:15], v[70:71], v[68:69]
	v_add_f64 v[90:91], v[82:83], -v[124:125]
	v_add_f64 v[98:99], v[132:133], -v[134:135]
	;; [unrolled: 1-line block ×3, first 2 shown]
	v_fmac_f64_e32 v[68:69], s[18:19], v[70:71]
	v_fmac_f64_e32 v[100:101], s[12:13], v[90:91]
	v_add_f64 v[98:99], v[98:99], v[102:103]
	v_fmac_f64_e32 v[68:69], s[20:21], v[90:91]
	v_fmac_f64_e32 v[100:101], s[16:17], v[98:99]
	;; [unrolled: 1-line block ×3, first 2 shown]
	v_add_f64 v[98:99], v[132:133], v[150:151]
	v_fmac_f64_e32 v[4:5], -0.5, v[98:99]
	v_fma_f64 v[104:105], s[18:19], v[90:91], v[4:5]
	v_fmac_f64_e32 v[4:5], s[14:15], v[90:91]
	v_fmac_f64_e32 v[104:105], s[12:13], v[70:71]
	;; [unrolled: 1-line block ×3, first 2 shown]
	v_add_f64 v[70:71], v[6:7], v[80:81]
	v_add_f64 v[98:99], v[134:135], -v[132:133]
	v_add_f64 v[102:103], v[148:149], -v[150:151]
	v_add_f64 v[70:71], v[70:71], v[82:83]
	v_add_f64 v[98:99], v[98:99], v[102:103]
	v_add_f64 v[70:71], v[70:71], v[124:125]
	v_fmac_f64_e32 v[104:105], s[16:17], v[98:99]
	v_fmac_f64_e32 v[4:5], s[16:17], v[98:99]
	v_add_f64 v[98:99], v[70:71], v[126:127]
	v_add_f64 v[70:71], v[82:83], v[124:125]
	v_accvgpr_write_b32 a52, v106
	v_mul_f64 v[146:147], v[128:129], v[112:113]
	v_accvgpr_write_b32 a56, v110
	v_fma_f64 v[70:71], -0.5, v[70:71], v[6:7]
	v_add_f64 v[90:91], v[132:133], -v[150:151]
	v_accvgpr_write_b32 a53, v107
	v_accvgpr_write_b32 a54, v108
	;; [unrolled: 1-line block ×6, first 2 shown]
	v_fmac_f64_e32 v[146:147], v[130:131], v[110:111]
	v_fma_f64 v[102:103], s[18:19], v[90:91], v[70:71]
	v_add_f64 v[108:109], v[134:135], -v[148:149]
	v_add_f64 v[106:107], v[80:81], -v[82:83]
	;; [unrolled: 1-line block ×3, first 2 shown]
	v_fmac_f64_e32 v[70:71], s[14:15], v[90:91]
	v_fmac_f64_e32 v[102:103], s[20:21], v[108:109]
	v_add_f64 v[106:107], v[106:107], v[110:111]
	v_fmac_f64_e32 v[70:71], s[12:13], v[108:109]
	v_fmac_f64_e32 v[102:103], s[16:17], v[106:107]
	;; [unrolled: 1-line block ×3, first 2 shown]
	v_add_f64 v[106:107], v[80:81], v[126:127]
	v_fmac_f64_e32 v[6:7], -0.5, v[106:107]
	v_fma_f64 v[106:107], s[14:15], v[108:109], v[6:7]
	v_add_f64 v[80:81], v[82:83], -v[80:81]
	v_add_f64 v[82:83], v[124:125], -v[126:127]
	v_fmac_f64_e32 v[6:7], s[18:19], v[108:109]
	v_fmac_f64_e32 v[106:107], s[20:21], v[90:91]
	v_add_f64 v[80:81], v[80:81], v[82:83]
	v_fmac_f64_e32 v[6:7], s[12:13], v[90:91]
	v_fmac_f64_e32 v[106:107], s[16:17], v[80:81]
	;; [unrolled: 1-line block ×3, first 2 shown]
	v_add_f64 v[80:81], v[74:75], v[140:141]
	v_accvgpr_write_b32 a112, v222
	v_fma_f64 v[124:125], -0.5, v[80:81], v[0:1]
	v_add_f64 v[80:81], v[94:95], -v[136:137]
	v_accvgpr_write_b32 a113, v223
	v_accvgpr_write_b32 a114, v224
	;; [unrolled: 1-line block ×3, first 2 shown]
	v_fma_f64 v[224:225], s[14:15], v[80:81], v[124:125]
	v_add_f64 v[82:83], v[142:143], -v[146:147]
	v_add_f64 v[90:91], v[72:73], -v[74:75]
	;; [unrolled: 1-line block ×3, first 2 shown]
	v_fmac_f64_e32 v[124:125], s[18:19], v[80:81]
	v_fmac_f64_e32 v[224:225], s[12:13], v[82:83]
	v_add_f64 v[90:91], v[90:91], v[108:109]
	v_fmac_f64_e32 v[124:125], s[20:21], v[82:83]
	v_fmac_f64_e32 v[224:225], s[16:17], v[90:91]
	;; [unrolled: 1-line block ×3, first 2 shown]
	v_add_f64 v[90:91], v[72:73], v[144:145]
	v_fma_f64 v[132:133], -0.5, v[90:91], v[0:1]
	v_fma_f64 v[128:129], s[18:19], v[82:83], v[132:133]
	v_fmac_f64_e32 v[132:133], s[14:15], v[82:83]
	v_fmac_f64_e32 v[128:129], s[12:13], v[80:81]
	v_add_f64 v[90:91], v[74:75], -v[72:73]
	v_add_f64 v[108:109], v[140:141], -v[144:145]
	v_fmac_f64_e32 v[132:133], s[20:21], v[80:81]
	v_add_f64 v[80:81], v[142:143], v[146:147]
	v_add_f64 v[90:91], v[90:91], v[108:109]
	v_fma_f64 v[126:127], -0.5, v[80:81], v[2:3]
	v_add_f64 v[80:81], v[72:73], -v[144:145]
	v_fmac_f64_e32 v[128:129], s[16:17], v[90:91]
	v_fmac_f64_e32 v[132:133], s[16:17], v[90:91]
	v_fma_f64 v[226:227], s[18:19], v[80:81], v[126:127]
	v_add_f64 v[82:83], v[74:75], -v[140:141]
	v_add_f64 v[90:91], v[94:95], -v[142:143]
	v_add_f64 v[108:109], v[136:137], -v[146:147]
	v_fmac_f64_e32 v[126:127], s[14:15], v[80:81]
	v_fmac_f64_e32 v[226:227], s[20:21], v[82:83]
	v_add_f64 v[90:91], v[90:91], v[108:109]
	v_fmac_f64_e32 v[126:127], s[12:13], v[82:83]
	ds_write_b128 v215, v[24:27]
	ds_write_b128 v215, v[28:31] offset:176
	ds_write_b128 v215, v[32:35] offset:352
	;; [unrolled: 1-line block ×4, first 2 shown]
	v_mul_u32_u24_e32 v16, 55, v78
	v_fmac_f64_e32 v[226:227], s[16:17], v[90:91]
	v_fmac_f64_e32 v[126:127], s[16:17], v[90:91]
	v_add_f64 v[90:91], v[94:95], v[136:137]
	v_add_lshl_u32 v219, v16, v79, 4
	v_fma_f64 v[134:135], -0.5, v[90:91], v[2:3]
	ds_write_b128 v219, v[40:43]
	ds_write_b128 v219, v[44:47] offset:176
	ds_write_b128 v219, v[48:51] offset:352
	ds_write_b128 v219, v[12:15] offset:528
	ds_write_b128 v219, v[36:39] offset:704
	v_mul_u32_u24_e32 v12, 55, v84
	v_fma_f64 v[130:131], s[14:15], v[82:83], v[134:135]
	v_add_f64 v[90:91], v[142:143], -v[94:95]
	v_add_f64 v[108:109], v[146:147], -v[136:137]
	v_fmac_f64_e32 v[134:135], s[18:19], v[82:83]
	v_add_lshl_u32 v222, v12, v85, 4
	v_accvgpr_write_b32 a96, v188
	v_accvgpr_write_b32 a88, v118
	;; [unrolled: 1-line block ×10, first 2 shown]
	v_fmac_f64_e32 v[130:131], s[20:21], v[80:81]
	v_add_f64 v[90:91], v[90:91], v[108:109]
	v_fmac_f64_e32 v[134:135], s[12:13], v[80:81]
	ds_write_b128 v222, v[56:59]
	ds_write_b128 v222, v[60:63] offset:176
	ds_write_b128 v222, v[64:67] offset:352
	;; [unrolled: 1-line block ×4, first 2 shown]
	v_mul_u32_u24_e32 v8, 55, v86
	v_accvgpr_write_b32 a97, v189
	v_accvgpr_write_b32 a98, v190
	;; [unrolled: 1-line block ×30, first 2 shown]
	v_fmac_f64_e32 v[130:131], s[16:17], v[90:91]
	v_fmac_f64_e32 v[134:135], s[16:17], v[90:91]
	v_add_lshl_u32 v223, v8, v87, 4
	ds_write_b128 v223, v[96:99]
	ds_write_b128 v223, v[100:103] offset:176
	ds_write_b128 v223, v[104:107] offset:352
	;; [unrolled: 1-line block ×4, first 2 shown]
	s_and_saveexec_b64 s[12:13], s[0:1]
	s_cbranch_execz .LBB0_11
; %bb.10:
	v_add_f64 v[2:3], v[2:3], v[94:95]
	v_add_f64 v[0:1], v[0:1], v[72:73]
	;; [unrolled: 1-line block ×8, first 2 shown]
	ds_write_b128 v214, v[0:3] offset:17600
	ds_write_b128 v214, v[224:227] offset:17776
	;; [unrolled: 1-line block ×5, first 2 shown]
.LBB0_11:
	s_or_b64 exec, exec, s[12:13]
	v_lshlrev_b32_e32 v236, 4, v218
	v_mov_b32_e32 v237, 0
	v_lshl_add_u64 v[94:95], s[2:3], 0, v[236:237]
	s_movk_i32 s2, 0x60
	v_mov_b64_e32 v[76:77], s[8:9]
	v_mad_u64_u32 v[78:79], s[12:13], v218, s2, v[76:77]
	s_waitcnt lgkmcnt(0)
	; wave barrier
	s_waitcnt lgkmcnt(0)
	ds_read_b128 v[8:11], v92
	ds_read_b128 v[156:159], v92 offset:2640
	ds_read_b128 v[148:151], v92 offset:5280
	;; [unrolled: 1-line block ×20, first 2 shown]
	global_load_dwordx4 v[136:139], v[78:79], off offset:752
	global_load_dwordx4 v[140:143], v[78:79], off offset:736
	;; [unrolled: 1-line block ×4, first 2 shown]
	s_movk_i32 s3, 0x95
	s_mov_b32 s12, 0x37e14327
	s_mov_b32 s16, 0xe976ee23
	;; [unrolled: 1-line block ×18, first 2 shown]
	v_lshlrev_b32_e32 v236, 5, v218
	s_waitcnt vmcnt(3) lgkmcnt(14)
	v_mul_f64 v[196:197], v[68:69], v[138:139]
	v_fmac_f64_e32 v[196:197], v[70:71], v[136:137]
	s_waitcnt vmcnt(1)
	v_mul_f64 v[190:191], v[148:149], v[146:147]
	s_waitcnt vmcnt(0)
	v_mul_f64 v[80:81], v[158:159], v[154:155]
	v_fma_f64 v[184:185], v[156:157], v[152:153], -v[80:81]
	v_mul_f64 v[186:187], v[156:157], v[154:155]
	v_mul_f64 v[80:81], v[150:151], v[146:147]
	v_fmac_f64_e32 v[186:187], v[158:159], v[152:153]
	v_fma_f64 v[188:189], v[148:149], v[144:145], -v[80:81]
	v_fmac_f64_e32 v[190:191], v[150:151], v[144:145]
	global_load_dwordx4 v[148:151], v[78:79], off offset:784
	global_load_dwordx4 v[156:159], v[78:79], off offset:768
	v_mul_f64 v[80:81], v[74:75], v[142:143]
	v_fma_f64 v[194:195], v[72:73], v[140:141], -v[80:81]
	v_mul_f64 v[72:73], v[72:73], v[142:143]
	v_fmac_f64_e32 v[72:73], v[74:75], v[140:141]
	v_mul_f64 v[74:75], v[70:71], v[138:139]
	v_fma_f64 v[74:75], v[68:69], v[136:137], -v[74:75]
	s_waitcnt vmcnt(1)
	v_mul_f64 v[212:213], v[60:61], v[150:151]
	s_waitcnt vmcnt(0)
	v_mul_f64 v[68:69], v[66:67], v[158:159]
	v_fma_f64 v[204:205], v[64:65], v[156:157], -v[68:69]
	v_mul_f64 v[206:207], v[64:65], v[158:159]
	v_mul_f64 v[64:65], v[62:63], v[150:151]
	v_fma_f64 v[210:211], v[60:61], v[148:149], -v[64:65]
	s_waitcnt lgkmcnt(12)
	v_mul_f64 v[60:61], v[58:59], v[154:155]
	v_fma_f64 v[60:61], v[56:57], v[152:153], -v[60:61]
	v_mul_f64 v[56:57], v[56:57], v[154:155]
	v_fmac_f64_e32 v[56:57], v[58:59], v[152:153]
	s_waitcnt lgkmcnt(11)
	v_mul_f64 v[58:59], v[54:55], v[146:147]
	v_fma_f64 v[58:59], v[52:53], v[144:145], -v[58:59]
	v_mul_f64 v[52:53], v[52:53], v[146:147]
	v_fmac_f64_e32 v[52:53], v[54:55], v[144:145]
	;; [unrolled: 5-line block ×6, first 2 shown]
	v_mul_lo_u16_sdwa v38, v200, s3 dst_sel:DWORD dst_unused:UNUSED_PAD src0_sel:BYTE_0 src1_sel:DWORD
	v_lshrrev_b16_e32 v38, 13, v38
	v_mul_lo_u16_e32 v38, 55, v38
	v_sub_u16_e32 v38, v200, v38
	v_and_b32_e32 v84, 0xff, v38
	v_mad_u64_u32 v[76:77], s[2:3], v84, s2, v[76:77]
	v_fmac_f64_e32 v[206:207], v[66:67], v[156:157]
	global_load_dwordx4 v[78:81], v[76:77], off offset:752
	global_load_dwordx4 v[86:89], v[76:77], off offset:736
	;; [unrolled: 1-line block ×4, first 2 shown]
	v_fmac_f64_e32 v[212:213], v[62:63], v[148:149]
	s_mov_b32 s2, 0x36b3c0b5
	s_mov_b32 s3, 0x3fac98ee
	s_waitcnt vmcnt(3) lgkmcnt(2)
	v_mul_f64 v[202:203], v[20:21], v[80:81]
	v_fmac_f64_e32 v[202:203], v[22:23], v[78:79]
	s_waitcnt vmcnt(1)
	v_accvgpr_write_b32 a143, v71
	s_waitcnt vmcnt(0)
	v_mul_f64 v[38:39], v[34:35], v[66:67]
	v_fma_f64 v[38:39], v[32:33], v[64:65], -v[38:39]
	v_mul_f64 v[62:63], v[32:33], v[66:67]
	v_accvgpr_write_b32 a147, v67
	v_mul_f64 v[32:33], v[30:31], v[70:71]
	v_accvgpr_write_b32 a146, v66
	v_accvgpr_write_b32 a145, v65
	;; [unrolled: 1-line block ×3, first 2 shown]
	v_fmac_f64_e32 v[62:63], v[34:35], v[64:65]
	v_fma_f64 v[64:65], v[28:29], v[68:69], -v[32:33]
	v_mul_f64 v[66:67], v[28:29], v[70:71]
	v_mul_f64 v[28:29], v[26:27], v[88:89]
	v_accvgpr_write_b32 a142, v70
	v_accvgpr_write_b32 a141, v69
	;; [unrolled: 1-line block ×3, first 2 shown]
	v_fmac_f64_e32 v[66:67], v[30:31], v[68:69]
	v_fma_f64 v[68:69], v[24:25], v[86:87], -v[28:29]
	v_mul_f64 v[70:71], v[24:25], v[88:89]
	v_mul_f64 v[24:25], v[22:23], v[80:81]
	v_fmac_f64_e32 v[70:71], v[26:27], v[86:87]
	v_fma_f64 v[198:199], v[20:21], v[78:79], -v[24:25]
	global_load_dwordx4 v[22:25], v[76:77], off offset:784
	global_load_dwordx4 v[26:29], v[76:77], off offset:768
	v_accvgpr_write_b32 a135, v81
	v_accvgpr_write_b32 a134, v80
	;; [unrolled: 1-line block ×5, first 2 shown]
	v_add_f64 v[30:31], v[72:73], v[196:197]
	v_add_f64 v[34:35], v[196:197], -v[72:73]
	v_accvgpr_write_b32 a138, v88
	v_accvgpr_write_b32 a137, v87
	;; [unrolled: 1-line block ×3, first 2 shown]
	v_add_f64 v[32:33], v[74:75], -v[194:195]
	s_waitcnt lgkmcnt(0)
	; wave barrier
	s_waitcnt vmcnt(1) lgkmcnt(0)
	v_mul_f64 v[78:79], v[12:13], v[24:25]
	s_waitcnt vmcnt(0)
	v_mul_f64 v[20:21], v[18:19], v[28:29]
	v_fma_f64 v[80:81], v[16:17], v[26:27], -v[20:21]
	v_mul_f64 v[82:83], v[16:17], v[28:29]
	v_mul_f64 v[16:17], v[14:15], v[24:25]
	v_accvgpr_write_b32 a155, v29
	v_fma_f64 v[76:77], v[12:13], v[22:23], -v[16:17]
	v_accvgpr_write_b32 a151, v25
	v_add_f64 v[12:13], v[184:185], v[210:211]
	v_add_f64 v[20:21], v[188:189], v[204:205]
	v_accvgpr_write_b32 a154, v28
	v_accvgpr_write_b32 a153, v27
	;; [unrolled: 1-line block ×6, first 2 shown]
	v_fmac_f64_e32 v[78:79], v[14:15], v[22:23]
	v_add_f64 v[14:15], v[186:187], v[212:213]
	v_add_f64 v[22:23], v[190:191], v[206:207]
	;; [unrolled: 1-line block ×5, first 2 shown]
	v_add_f64 v[86:87], v[20:21], -v[12:13]
	v_add_f64 v[12:13], v[12:13], -v[28:29]
	;; [unrolled: 1-line block ×3, first 2 shown]
	v_add_f64 v[28:29], v[28:29], v[72:73]
	v_fmac_f64_e32 v[82:83], v[18:19], v[26:27]
	v_add_f64 v[16:17], v[184:185], -v[210:211]
	v_add_f64 v[18:19], v[186:187], -v[212:213]
	;; [unrolled: 1-line block ×7, first 2 shown]
	v_add_f64 v[30:31], v[30:31], v[74:75]
	v_add_f64 v[8:9], v[8:9], v[28:29]
	;; [unrolled: 1-line block ×4, first 2 shown]
	v_add_f64 v[98:99], v[32:33], -v[24:25]
	v_add_f64 v[100:101], v[34:35], -v[26:27]
	;; [unrolled: 1-line block ×4, first 2 shown]
	v_add_f64 v[10:11], v[10:11], v[30:31]
	v_mov_b64_e32 v[102:103], v[8:9]
	v_add_f64 v[32:33], v[16:17], -v[32:33]
	v_add_f64 v[34:35], v[18:19], -v[34:35]
	v_add_f64 v[16:17], v[90:91], v[16:17]
	v_add_f64 v[18:19], v[96:97], v[18:19]
	v_mul_f64 v[12:13], v[12:13], s[12:13]
	v_mul_f64 v[14:15], v[14:15], s[12:13]
	;; [unrolled: 1-line block ×8, first 2 shown]
	v_fmac_f64_e32 v[102:103], s[18:19], v[28:29]
	v_mov_b64_e32 v[28:29], v[10:11]
	v_fmac_f64_e32 v[28:29], s[18:19], v[30:31]
	v_fma_f64 v[30:31], v[86:87], s[20:21], -v[72:73]
	v_fma_f64 v[72:73], v[88:89], s[20:21], -v[74:75]
	;; [unrolled: 1-line block ×3, first 2 shown]
	v_fmac_f64_e32 v[12:13], s[2:3], v[20:21]
	v_fma_f64 v[20:21], v[88:89], s[22:23], -v[14:15]
	v_fma_f64 v[86:87], v[24:25], s[14:15], -v[90:91]
	v_fmac_f64_e32 v[90:91], s[24:25], v[32:33]
	v_fma_f64 v[24:25], v[26:27], s[14:15], -v[96:97]
	v_fmac_f64_e32 v[96:97], s[24:25], v[34:35]
	v_fma_f64 v[32:33], v[32:33], s[28:29], -v[98:99]
	v_fma_f64 v[34:35], v[34:35], s[28:29], -v[100:101]
	v_fmac_f64_e32 v[14:15], s[2:3], v[22:23]
	v_add_f64 v[26:27], v[30:31], v[102:103]
	v_add_f64 v[30:31], v[72:73], v[28:29]
	;; [unrolled: 1-line block ×4, first 2 shown]
	v_fmac_f64_e32 v[86:87], s[26:27], v[16:17]
	v_fmac_f64_e32 v[24:25], s[26:27], v[18:19]
	v_fmac_f64_e32 v[32:33], s[26:27], v[16:17]
	v_fmac_f64_e32 v[34:35], s[26:27], v[18:19]
	v_add_f64 v[98:99], v[14:15], v[28:29]
	v_fmac_f64_e32 v[90:91], s[26:27], v[16:17]
	v_fmac_f64_e32 v[96:97], s[26:27], v[18:19]
	v_add_f64 v[16:17], v[34:35], v[72:73]
	v_add_f64 v[18:19], v[74:75], -v[32:33]
	v_add_f64 v[20:21], v[26:27], -v[24:25]
	v_add_f64 v[22:23], v[86:87], v[30:31]
	v_add_f64 v[24:25], v[24:25], v[26:27]
	v_add_f64 v[26:27], v[30:31], -v[86:87]
	v_add_f64 v[28:29], v[72:73], -v[34:35]
	v_add_f64 v[30:31], v[32:33], v[74:75]
	v_add_f64 v[72:73], v[60:61], v[42:43]
	;; [unrolled: 1-line block ×3, first 2 shown]
	v_add_f64 v[36:37], v[56:57], -v[36:37]
	v_add_f64 v[56:57], v[58:59], v[46:47]
	v_add_f64 v[42:43], v[60:61], -v[42:43]
	v_add_f64 v[60:61], v[52:53], v[40:41]
	v_add_f64 v[46:47], v[58:59], -v[46:47]
	v_add_f64 v[40:41], v[52:53], -v[40:41]
	v_add_f64 v[52:53], v[54:55], v[50:51]
	v_add_f64 v[58:59], v[48:49], v[44:45]
	v_add_f64 v[44:45], v[44:45], -v[48:49]
	v_add_f64 v[48:49], v[56:57], v[72:73]
	v_add_f64 v[50:51], v[50:51], -v[54:55]
	v_add_f64 v[54:55], v[60:61], v[74:75]
	v_add_f64 v[48:49], v[52:53], v[48:49]
	;; [unrolled: 1-line block ×3, first 2 shown]
	v_add_f64 v[86:87], v[56:57], -v[72:73]
	v_add_f64 v[72:73], v[72:73], -v[52:53]
	;; [unrolled: 1-line block ×3, first 2 shown]
	v_add_f64 v[52:53], v[58:59], v[54:55]
	v_add_f64 v[4:5], v[4:5], v[48:49]
	;; [unrolled: 1-line block ×3, first 2 shown]
	v_add_f64 v[14:15], v[98:99], -v[90:91]
	v_add_f64 v[32:33], v[88:89], -v[96:97]
	v_add_f64 v[34:35], v[90:91], v[98:99]
	v_add_f64 v[88:89], v[60:61], -v[74:75]
	v_add_f64 v[74:75], v[74:75], -v[58:59]
	;; [unrolled: 1-line block ×3, first 2 shown]
	v_add_f64 v[90:91], v[50:51], v[46:47]
	v_add_f64 v[96:97], v[44:45], v[40:41]
	v_add_f64 v[98:99], v[50:51], -v[46:47]
	v_add_f64 v[100:101], v[44:45], -v[40:41]
	;; [unrolled: 1-line block ×4, first 2 shown]
	v_add_f64 v[6:7], v[6:7], v[52:53]
	v_mov_b64_e32 v[102:103], v[4:5]
	v_add_f64 v[50:51], v[42:43], -v[50:51]
	v_add_f64 v[44:45], v[36:37], -v[44:45]
	v_add_f64 v[42:43], v[90:91], v[42:43]
	v_add_f64 v[36:37], v[96:97], v[36:37]
	v_mul_f64 v[54:55], v[72:73], s[12:13]
	v_mul_f64 v[58:59], v[74:75], s[12:13]
	;; [unrolled: 1-line block ×8, first 2 shown]
	v_fmac_f64_e32 v[102:103], s[18:19], v[48:49]
	v_mov_b64_e32 v[48:49], v[6:7]
	v_fmac_f64_e32 v[48:49], s[18:19], v[52:53]
	v_fma_f64 v[52:53], v[86:87], s[20:21], -v[72:73]
	v_fma_f64 v[72:73], v[88:89], s[20:21], -v[74:75]
	;; [unrolled: 1-line block ×3, first 2 shown]
	v_fmac_f64_e32 v[54:55], s[2:3], v[56:57]
	v_fma_f64 v[56:57], v[88:89], s[22:23], -v[58:59]
	v_fmac_f64_e32 v[58:59], s[2:3], v[60:61]
	v_fma_f64 v[60:61], v[46:47], s[14:15], -v[90:91]
	v_fma_f64 v[86:87], v[40:41], s[14:15], -v[96:97]
	v_fmac_f64_e32 v[96:97], s[24:25], v[44:45]
	v_fma_f64 v[88:89], v[50:51], s[28:29], -v[98:99]
	v_fma_f64 v[98:99], v[44:45], s[28:29], -v[100:101]
	v_fmac_f64_e32 v[90:91], s[24:25], v[50:51]
	v_add_f64 v[100:101], v[54:55], v[102:103]
	v_add_f64 v[52:53], v[52:53], v[102:103]
	;; [unrolled: 1-line block ×3, first 2 shown]
	v_fmac_f64_e32 v[96:97], s[26:27], v[36:37]
	v_fmac_f64_e32 v[60:61], s[26:27], v[42:43]
	;; [unrolled: 1-line block ×4, first 2 shown]
	v_add_f64 v[36:37], v[38:39], v[76:77]
	v_add_f64 v[38:39], v[38:39], -v[76:77]
	v_add_f64 v[76:77], v[64:65], v[80:81]
	v_add_f64 v[104:105], v[58:59], v[48:49]
	;; [unrolled: 1-line block ×4, first 2 shown]
	v_fmac_f64_e32 v[90:91], s[26:27], v[42:43]
	v_fmac_f64_e32 v[88:89], s[26:27], v[42:43]
	v_add_f64 v[48:49], v[52:53], -v[86:87]
	v_add_f64 v[50:51], v[60:61], v[54:55]
	v_add_f64 v[52:53], v[86:87], v[52:53]
	v_add_f64 v[54:55], v[54:55], -v[60:61]
	v_add_f64 v[60:61], v[62:63], v[78:79]
	v_add_f64 v[62:63], v[62:63], -v[78:79]
	;; [unrolled: 2-line block ×3, first 2 shown]
	v_add_f64 v[80:81], v[68:69], v[198:199]
	v_add_f64 v[86:87], v[76:77], v[36:37]
	v_add_f64 v[42:43], v[104:105], -v[90:91]
	v_add_f64 v[44:45], v[98:99], v[58:59]
	v_add_f64 v[46:47], v[72:73], -v[88:89]
	v_add_f64 v[56:57], v[58:59], -v[98:99]
	v_add_f64 v[58:59], v[88:89], v[72:73]
	v_add_f64 v[74:75], v[90:91], v[104:105]
	v_add_f64 v[66:67], v[66:67], -v[82:83]
	v_add_f64 v[82:83], v[70:71], v[202:203]
	v_add_f64 v[88:89], v[78:79], v[60:61]
	v_add_f64 v[90:91], v[76:77], -v[36:37]
	v_add_f64 v[36:37], v[36:37], -v[80:81]
	;; [unrolled: 1-line block ×3, first 2 shown]
	v_add_f64 v[80:81], v[80:81], v[86:87]
	v_add_f64 v[40:41], v[96:97], v[100:101]
	v_add_f64 v[72:73], v[100:101], -v[96:97]
	v_add_f64 v[68:69], v[198:199], -v[68:69]
	;; [unrolled: 1-line block ×6, first 2 shown]
	v_add_f64 v[82:83], v[82:83], v[88:89]
	v_add_f64 v[0:1], v[0:1], v[80:81]
	v_add_f64 v[98:99], v[68:69], v[64:65]
	v_add_f64 v[100:101], v[70:71], v[66:67]
	v_add_f64 v[102:103], v[68:69], -v[64:65]
	v_add_f64 v[104:105], v[70:71], -v[66:67]
	v_add_f64 v[64:65], v[64:65], -v[38:39]
	v_add_f64 v[66:67], v[66:67], -v[62:63]
	v_add_f64 v[2:3], v[2:3], v[82:83]
	v_mov_b64_e32 v[106:107], v[0:1]
	v_add_f64 v[68:69], v[38:39], -v[68:69]
	v_add_f64 v[70:71], v[62:63], -v[70:71]
	v_add_f64 v[38:39], v[98:99], v[38:39]
	v_add_f64 v[62:63], v[100:101], v[62:63]
	v_mul_f64 v[36:37], v[36:37], s[12:13]
	v_mul_f64 v[60:61], v[60:61], s[12:13]
	;; [unrolled: 1-line block ×8, first 2 shown]
	v_fmac_f64_e32 v[106:107], s[18:19], v[80:81]
	v_mov_b64_e32 v[80:81], v[2:3]
	v_fmac_f64_e32 v[80:81], s[18:19], v[82:83]
	v_fma_f64 v[76:77], s[2:3], v[76:77], v[36:37]
	v_fma_f64 v[82:83], v[90:91], s[20:21], -v[86:87]
	v_fma_f64 v[86:87], v[96:97], s[20:21], -v[88:89]
	;; [unrolled: 1-line block ×4, first 2 shown]
	v_fmac_f64_e32 v[60:61], s[2:3], v[78:79]
	v_fma_f64 v[90:91], s[24:25], v[68:69], v[98:99]
	v_fma_f64 v[78:79], v[64:65], s[14:15], -v[98:99]
	v_fma_f64 v[96:97], v[66:67], s[14:15], -v[100:101]
	v_fmac_f64_e32 v[100:101], s[24:25], v[70:71]
	v_fma_f64 v[98:99], v[68:69], s[28:29], -v[102:103]
	v_fma_f64 v[102:103], v[70:71], s[28:29], -v[104:105]
	ds_write_b128 v92, v[8:11]
	ds_write_b128 v92, v[12:15] offset:880
	ds_write_b128 v92, v[16:19] offset:1760
	;; [unrolled: 1-line block ×13, first 2 shown]
	v_lshl_add_u64 v[72:73], s[8:9], 0, v[236:237]
	s_mov_b64 s[12:13], 0x1760
	s_movk_i32 s14, 0x1000
	v_add_f64 v[104:105], v[76:77], v[106:107]
	v_add_f64 v[108:109], v[60:61], v[80:81]
	;; [unrolled: 1-line block ×6, first 2 shown]
	v_fmac_f64_e32 v[90:91], s[26:27], v[38:39]
	v_fmac_f64_e32 v[100:101], s[26:27], v[62:63]
	;; [unrolled: 1-line block ×6, first 2 shown]
	v_lshl_add_u64 v[74:75], v[72:73], 0, s[12:13]
	v_add_co_u32_e64 v72, s[2:3], s14, v72
	v_add_f64 v[36:37], v[100:101], v[104:105]
	v_add_f64 v[38:39], v[108:109], -v[90:91]
	v_add_f64 v[60:61], v[102:103], v[76:77]
	v_add_f64 v[62:63], v[80:81], -v[98:99]
	v_add_f64 v[64:65], v[68:69], -v[96:97]
	v_add_f64 v[66:67], v[78:79], v[70:71]
	v_add_f64 v[68:69], v[96:97], v[68:69]
	v_add_f64 v[70:71], v[70:71], -v[78:79]
	v_lshlrev_b32_e32 v202, 4, v84
	v_addc_co_u32_e64 v73, s[2:3], 0, v73, s[2:3]
	v_add_f64 v[76:77], v[76:77], -v[102:103]
	v_add_f64 v[78:79], v[98:99], v[80:81]
	v_add_f64 v[80:81], v[104:105], -v[100:101]
	v_add_f64 v[82:83], v[90:91], v[108:109]
	ds_write_b128 v202, v[0:3] offset:12320
	ds_write_b128 v202, v[36:39] offset:13200
	;; [unrolled: 1-line block ×7, first 2 shown]
	s_waitcnt lgkmcnt(0)
	; wave barrier
	s_waitcnt lgkmcnt(0)
	ds_read_b128 v[36:39], v92
	ds_read_b128 v[68:71], v92 offset:6160
	ds_read_b128 v[64:67], v92 offset:12320
	;; [unrolled: 1-line block ×20, first 2 shown]
	global_load_dwordx4 v[204:207], v[72:73], off offset:1888
	global_load_dwordx4 v[210:213], v[74:75], off offset:16
	s_waitcnt vmcnt(1) lgkmcnt(14)
	v_mul_f64 v[72:73], v[70:71], v[206:207]
	v_fma_f64 v[72:73], v[68:69], v[204:205], -v[72:73]
	v_mul_f64 v[68:69], v[68:69], v[206:207]
	v_fmac_f64_e32 v[68:69], v[70:71], v[204:205]
	s_waitcnt vmcnt(0)
	v_mul_f64 v[70:71], v[66:67], v[212:213]
	v_fma_f64 v[70:71], v[64:65], v[210:211], -v[70:71]
	v_mul_f64 v[64:65], v[64:65], v[212:213]
	v_fmac_f64_e32 v[64:65], v[66:67], v[210:211]
	v_lshlrev_b32_e32 v66, 5, v192
	v_mov_b32_e32 v67, v237
	v_lshl_add_u64 v[66:67], s[8:9], 0, v[66:67]
	v_lshl_add_u64 v[74:75], v[66:67], 0, s[12:13]
	v_add_co_u32_e64 v66, s[2:3], s14, v66
	s_nop 1
	v_addc_co_u32_e64 v67, s[2:3], 0, v67, s[2:3]
	global_load_dwordx4 v[76:79], v[66:67], off offset:1888
	global_load_dwordx4 v[80:83], v[74:75], off offset:16
	s_waitcnt vmcnt(1)
	v_mul_f64 v[66:67], v[62:63], v[78:79]
	v_fma_f64 v[66:67], v[60:61], v[76:77], -v[66:67]
	v_mul_f64 v[60:61], v[60:61], v[78:79]
	v_fmac_f64_e32 v[60:61], v[62:63], v[76:77]
	s_waitcnt vmcnt(0)
	v_mul_f64 v[62:63], v[58:59], v[82:83]
	v_fma_f64 v[62:63], v[56:57], v[80:81], -v[62:63]
	v_mul_f64 v[56:57], v[56:57], v[82:83]
	v_fmac_f64_e32 v[56:57], v[58:59], v[80:81]
	v_lshlrev_b64 v[58:59], 5, v[200:201]
	v_lshl_add_u64 v[58:59], s[8:9], 0, v[58:59]
	v_lshl_add_u64 v[74:75], v[58:59], 0, s[12:13]
	v_add_co_u32_e64 v58, s[2:3], s14, v58
	v_accvgpr_write_b32 a167, v79
	v_accvgpr_write_b32 a171, v83
	v_addc_co_u32_e64 v59, s[2:3], 0, v59, s[2:3]
	v_accvgpr_write_b32 a166, v78
	v_accvgpr_write_b32 a165, v77
	v_accvgpr_write_b32 a164, v76
	v_accvgpr_write_b32 a170, v82
	v_accvgpr_write_b32 a169, v81
	v_accvgpr_write_b32 a168, v80
	global_load_dwordx4 v[76:79], v[58:59], off offset:1888
	global_load_dwordx4 v[80:83], v[74:75], off offset:16
	s_waitcnt vmcnt(1) lgkmcnt(13)
	v_mul_f64 v[58:59], v[54:55], v[78:79]
	v_fma_f64 v[58:59], v[52:53], v[76:77], -v[58:59]
	v_mul_f64 v[52:53], v[52:53], v[78:79]
	v_fmac_f64_e32 v[52:53], v[54:55], v[76:77]
	s_waitcnt vmcnt(0) lgkmcnt(12)
	v_mul_f64 v[54:55], v[50:51], v[82:83]
	v_fma_f64 v[54:55], v[48:49], v[80:81], -v[54:55]
	v_mul_f64 v[48:49], v[48:49], v[82:83]
	v_fmac_f64_e32 v[48:49], v[50:51], v[80:81]
	v_lshlrev_b64 v[50:51], 5, v[208:209]
	v_lshl_add_u64 v[50:51], s[8:9], 0, v[50:51]
	v_lshl_add_u64 v[74:75], v[50:51], 0, s[12:13]
	v_add_co_u32_e64 v50, s[2:3], s14, v50
	v_accvgpr_write_b32 a175, v79
	v_accvgpr_write_b32 a179, v83
	v_addc_co_u32_e64 v51, s[2:3], 0, v51, s[2:3]
	v_accvgpr_write_b32 a174, v78
	v_accvgpr_write_b32 a173, v77
	v_accvgpr_write_b32 a172, v76
	v_accvgpr_write_b32 a178, v82
	v_accvgpr_write_b32 a177, v81
	v_accvgpr_write_b32 a176, v80
	global_load_dwordx4 v[76:79], v[50:51], off offset:1888
	global_load_dwordx4 v[80:83], v[74:75], off offset:16
	s_waitcnt vmcnt(1) lgkmcnt(10)
	v_mul_f64 v[50:51], v[46:47], v[78:79]
	v_fma_f64 v[50:51], v[44:45], v[76:77], -v[50:51]
	v_mul_f64 v[44:45], v[44:45], v[78:79]
	v_fmac_f64_e32 v[44:45], v[46:47], v[76:77]
	s_waitcnt vmcnt(0) lgkmcnt(9)
	;; [unrolled: 25-line block ×3, first 2 shown]
	v_mul_f64 v[26:27], v[22:23], v[82:83]
	v_fma_f64 v[26:27], v[20:21], v[80:81], -v[26:27]
	v_mul_f64 v[20:21], v[20:21], v[82:83]
	v_fmac_f64_e32 v[20:21], v[22:23], v[80:81]
	v_add_u32_e32 v22, 0x2260, v236
	v_mov_b32_e32 v23, v237
	v_lshl_add_u64 v[22:23], s[8:9], 0, v[22:23]
	v_lshl_add_u64 v[74:75], v[22:23], 0, s[12:13]
	v_add_co_u32_e64 v22, s[2:3], s14, v22
	v_accvgpr_write_b32 a191, v79
	v_accvgpr_write_b32 a195, v83
	v_addc_co_u32_e64 v23, s[2:3], 0, v23, s[2:3]
	v_accvgpr_write_b32 a190, v78
	v_accvgpr_write_b32 a189, v77
	;; [unrolled: 1-line block ×6, first 2 shown]
	global_load_dwordx4 v[76:79], v[22:23], off offset:1888
	global_load_dwordx4 v[82:85], v[74:75], off offset:16
	v_add_u32_e32 v236, 0x2940, v236
	s_waitcnt vmcnt(1) lgkmcnt(4)
	v_mul_f64 v[22:23], v[18:19], v[78:79]
	v_fma_f64 v[22:23], v[16:17], v[76:77], -v[22:23]
	v_mul_f64 v[74:75], v[16:17], v[78:79]
	s_waitcnt vmcnt(0) lgkmcnt(3)
	v_mul_f64 v[16:17], v[14:15], v[84:85]
	v_fmac_f64_e32 v[74:75], v[18:19], v[76:77]
	v_fma_f64 v[18:19], v[12:13], v[82:83], -v[16:17]
	v_mul_f64 v[80:81], v[12:13], v[84:85]
	v_lshl_add_u64 v[12:13], s[8:9], 0, v[236:237]
	v_fmac_f64_e32 v[80:81], v[14:15], v[82:83]
	v_lshl_add_u64 v[14:15], v[12:13], 0, s[12:13]
	v_add_co_u32_e64 v12, s[2:3], s14, v12
	v_accvgpr_write_b32 a199, v79
	s_nop 0
	v_addc_co_u32_e64 v13, s[2:3], 0, v13, s[2:3]
	v_accvgpr_write_b32 a198, v78
	v_accvgpr_write_b32 a197, v77
	;; [unrolled: 1-line block ×3, first 2 shown]
	global_load_dwordx4 v[76:79], v[12:13], off offset:1888
	global_load_dwordx4 v[240:243], v[14:15], off offset:16
	s_mov_b32 s2, 0xe8584caa
	v_accvgpr_write_b32 a203, v85
	s_mov_b32 s3, 0x3febb67a
	s_mov_b32 s9, 0xbfebb67a
	;; [unrolled: 1-line block ×3, first 2 shown]
	v_accvgpr_write_b32 a202, v84
	v_accvgpr_write_b32 a201, v83
	;; [unrolled: 1-line block ×3, first 2 shown]
	v_add_f64 v[14:15], v[22:23], v[18:19]
	s_movk_i32 s12, 0x4000
	s_waitcnt vmcnt(1) lgkmcnt(1)
	v_mul_f64 v[12:13], v[10:11], v[78:79]
	v_fma_f64 v[86:87], v[8:9], v[76:77], -v[12:13]
	v_mul_f64 v[88:89], v[8:9], v[78:79]
	s_waitcnt vmcnt(0) lgkmcnt(0)
	v_mul_f64 v[8:9], v[6:7], v[242:243]
	v_accvgpr_write_b32 a207, v79
	v_fma_f64 v[90:91], v[4:5], v[240:241], -v[8:9]
	v_mul_f64 v[96:97], v[4:5], v[242:243]
	v_add_f64 v[4:5], v[36:37], v[72:73]
	v_accvgpr_write_b32 a206, v78
	v_accvgpr_write_b32 a205, v77
	;; [unrolled: 1-line block ×3, first 2 shown]
	v_fmac_f64_e32 v[88:89], v[10:11], v[76:77]
	v_add_f64 v[76:77], v[4:5], v[70:71]
	v_add_f64 v[4:5], v[72:73], v[70:71]
	v_fmac_f64_e32 v[36:37], -0.5, v[4:5]
	v_add_f64 v[4:5], v[68:69], -v[64:65]
	v_fma_f64 v[82:83], s[2:3], v[4:5], v[36:37]
	v_fmac_f64_e32 v[36:37], s[8:9], v[4:5]
	v_add_f64 v[4:5], v[38:39], v[68:69]
	v_add_f64 v[78:79], v[4:5], v[64:65]
	v_add_f64 v[4:5], v[68:69], v[64:65]
	v_fmac_f64_e32 v[38:39], -0.5, v[4:5]
	v_add_f64 v[4:5], v[72:73], -v[70:71]
	v_fma_f64 v[84:85], s[8:9], v[4:5], v[38:39]
	v_fmac_f64_e32 v[38:39], s[2:3], v[4:5]
	v_add_f64 v[4:5], v[32:33], v[66:67]
	;; [unrolled: 7-line block ×7, first 2 shown]
	v_add_f64 v[54:55], v[4:5], v[40:41]
	v_add_f64 v[4:5], v[44:45], v[40:41]
	v_fmac_f64_e32 v[96:97], v[6:7], v[240:241]
	v_fmac_f64_e32 v[246:247], -0.5, v[4:5]
	v_add_f64 v[4:5], v[50:51], -v[46:47]
	v_add_f64 v[6:7], v[42:43], v[26:27]
	v_fma_f64 v[50:51], s[8:9], v[4:5], v[246:247]
	v_fmac_f64_e32 v[246:247], s[2:3], v[4:5]
	v_add_f64 v[4:5], v[248:249], v[42:43]
	v_fmac_f64_e32 v[248:249], -0.5, v[6:7]
	v_add_f64 v[6:7], v[24:25], -v[20:21]
	v_add_f64 v[10:11], v[24:25], v[20:21]
	v_fma_f64 v[8:9], s[2:3], v[6:7], v[248:249]
	v_fmac_f64_e32 v[248:249], s[8:9], v[6:7]
	v_add_f64 v[6:7], v[250:251], v[24:25]
	v_fmac_f64_e32 v[250:251], -0.5, v[10:11]
	v_add_f64 v[12:13], v[42:43], -v[26:27]
	v_add_f64 v[6:7], v[6:7], v[20:21]
	v_fma_f64 v[10:11], s[8:9], v[12:13], v[250:251]
	v_fmac_f64_e32 v[250:251], s[2:3], v[12:13]
	v_add_f64 v[12:13], v[252:253], v[22:23]
	v_fmac_f64_e32 v[252:253], -0.5, v[14:15]
	v_add_f64 v[14:15], v[74:75], -v[80:81]
	v_add_f64 v[20:21], v[74:75], v[80:81]
	v_fma_f64 v[16:17], s[2:3], v[14:15], v[252:253]
	v_fmac_f64_e32 v[252:253], s[8:9], v[14:15]
	v_add_f64 v[14:15], v[254:255], v[74:75]
	v_fmac_f64_e32 v[254:255], -0.5, v[20:21]
	v_add_f64 v[20:21], v[22:23], -v[18:19]
	v_add_f64 v[22:23], v[86:87], v[90:91]
	v_add_f64 v[4:5], v[4:5], v[26:27]
	;; [unrolled: 1-line block ×3, first 2 shown]
	v_fma_f64 v[18:19], s[8:9], v[20:21], v[254:255]
	v_fmac_f64_e32 v[254:255], s[2:3], v[20:21]
	v_add_f64 v[20:21], v[0:1], v[86:87]
	v_fmac_f64_e32 v[0:1], -0.5, v[22:23]
	v_add_f64 v[22:23], v[88:89], -v[96:97]
	v_add_f64 v[26:27], v[88:89], v[96:97]
	v_fma_f64 v[24:25], s[2:3], v[22:23], v[0:1]
	v_fmac_f64_e32 v[0:1], s[8:9], v[22:23]
	v_add_f64 v[22:23], v[2:3], v[88:89]
	v_fmac_f64_e32 v[2:3], -0.5, v[26:27]
	v_add_f64 v[40:41], v[86:87], -v[90:91]
	v_fma_f64 v[26:27], s[8:9], v[40:41], v[2:3]
	v_fmac_f64_e32 v[2:3], s[2:3], v[40:41]
	s_mov_b64 s[2:3], 0x4830
	v_add_f64 v[14:15], v[14:15], v[80:81]
	v_add_f64 v[20:21], v[20:21], v[90:91]
	v_add_f64 v[22:23], v[22:23], v[96:97]
	ds_write_b128 v92, v[76:79]
	ds_write_b128 v92, v[82:85] offset:6160
	ds_write_b128 v92, v[36:39] offset:12320
	;; [unrolled: 1-line block ×20, first 2 shown]
	v_lshl_add_u64 v[28:29], v[94:95], 0, s[2:3]
	v_add_co_u32_e64 v34, s[2:3], s12, v94
	s_waitcnt lgkmcnt(0)
	s_nop 0
	v_addc_co_u32_e64 v35, s[2:3], 0, v95, s[2:3]
	; wave barrier
	global_load_dwordx4 v[34:37], v[34:35], off offset:2096
	ds_read_b128 v[30:33], v92
	s_movk_i32 s2, 0x5000
	s_waitcnt vmcnt(0) lgkmcnt(0)
	v_mul_f64 v[38:39], v[32:33], v[36:37]
	v_mul_f64 v[40:41], v[30:31], v[36:37]
	v_fma_f64 v[38:39], v[30:31], v[34:35], -v[38:39]
	v_fmac_f64_e32 v[40:41], v[32:33], v[34:35]
	global_load_dwordx4 v[34:37], v[28:29], off offset:1680
	ds_read_b128 v[30:33], v92 offset:1680
	ds_write_b128 v92, v[38:41]
	s_waitcnt vmcnt(0) lgkmcnt(1)
	v_mul_f64 v[38:39], v[32:33], v[36:37]
	v_mul_f64 v[40:41], v[30:31], v[36:37]
	v_fma_f64 v[38:39], v[30:31], v[34:35], -v[38:39]
	v_fmac_f64_e32 v[40:41], v[32:33], v[34:35]
	global_load_dwordx4 v[34:37], v[28:29], off offset:3360
	ds_read_b128 v[30:33], v92 offset:3360
	ds_write_b128 v92, v[38:41] offset:1680
	s_waitcnt vmcnt(0) lgkmcnt(1)
	v_mul_f64 v[38:39], v[32:33], v[36:37]
	v_mul_f64 v[40:41], v[30:31], v[36:37]
	v_fma_f64 v[38:39], v[30:31], v[34:35], -v[38:39]
	v_fmac_f64_e32 v[40:41], v[32:33], v[34:35]
	v_add_co_u32_e64 v34, s[2:3], s2, v94
	ds_read_b128 v[30:33], v92 offset:5040
	s_nop 0
	v_addc_co_u32_e64 v35, s[2:3], 0, v95, s[2:3]
	global_load_dwordx4 v[34:37], v[34:35], off offset:3040
	s_movk_i32 s2, 0x6000
	v_add_co_u32_e64 v42, s[2:3], s2, v94
	ds_write_b128 v92, v[38:41] offset:3360
	s_nop 0
	v_addc_co_u32_e64 v43, s[2:3], 0, v95, s[2:3]
	s_movk_i32 s2, 0x7000
	s_waitcnt vmcnt(0) lgkmcnt(1)
	v_mul_f64 v[38:39], v[32:33], v[36:37]
	v_mul_f64 v[40:41], v[30:31], v[36:37]
	v_fma_f64 v[38:39], v[30:31], v[34:35], -v[38:39]
	v_fmac_f64_e32 v[40:41], v[32:33], v[34:35]
	global_load_dwordx4 v[34:37], v[42:43], off offset:624
	ds_read_b128 v[30:33], v92 offset:6720
	ds_write_b128 v92, v[38:41] offset:5040
	s_waitcnt vmcnt(0) lgkmcnt(1)
	v_mul_f64 v[38:39], v[32:33], v[36:37]
	v_mul_f64 v[40:41], v[30:31], v[36:37]
	v_fma_f64 v[38:39], v[30:31], v[34:35], -v[38:39]
	v_fmac_f64_e32 v[40:41], v[32:33], v[34:35]
	global_load_dwordx4 v[34:37], v[42:43], off offset:2304
	ds_read_b128 v[30:33], v92 offset:8400
	ds_write_b128 v92, v[38:41] offset:6720
	s_waitcnt vmcnt(0) lgkmcnt(1)
	v_mul_f64 v[38:39], v[32:33], v[36:37]
	v_mul_f64 v[40:41], v[30:31], v[36:37]
	v_fma_f64 v[38:39], v[30:31], v[34:35], -v[38:39]
	v_fmac_f64_e32 v[40:41], v[32:33], v[34:35]
	global_load_dwordx4 v[34:37], v[42:43], off offset:3984
	ds_read_b128 v[30:33], v92 offset:10080
	v_add_co_u32_e64 v42, s[2:3], s2, v94
	ds_write_b128 v92, v[38:41] offset:8400
	s_nop 0
	v_addc_co_u32_e64 v43, s[2:3], 0, v95, s[2:3]
	s_mov_b32 s2, 0x8000
	s_waitcnt vmcnt(0) lgkmcnt(1)
	v_mul_f64 v[38:39], v[32:33], v[36:37]
	v_mul_f64 v[40:41], v[30:31], v[36:37]
	v_fma_f64 v[38:39], v[30:31], v[34:35], -v[38:39]
	v_fmac_f64_e32 v[40:41], v[32:33], v[34:35]
	global_load_dwordx4 v[34:37], v[42:43], off offset:1568
	ds_read_b128 v[30:33], v92 offset:11760
	ds_write_b128 v92, v[38:41] offset:10080
	s_waitcnt vmcnt(0) lgkmcnt(1)
	v_mul_f64 v[38:39], v[32:33], v[36:37]
	v_mul_f64 v[40:41], v[30:31], v[36:37]
	v_fma_f64 v[38:39], v[30:31], v[34:35], -v[38:39]
	v_fmac_f64_e32 v[40:41], v[32:33], v[34:35]
	global_load_dwordx4 v[34:37], v[42:43], off offset:3248
	ds_read_b128 v[30:33], v92 offset:13440
	v_add_co_u32_e64 v42, s[2:3], s2, v94
	ds_write_b128 v92, v[38:41] offset:11760
	s_nop 0
	v_addc_co_u32_e64 v43, s[2:3], 0, v95, s[2:3]
	s_waitcnt vmcnt(0) lgkmcnt(1)
	v_mul_f64 v[38:39], v[32:33], v[36:37]
	v_mul_f64 v[40:41], v[30:31], v[36:37]
	v_fma_f64 v[38:39], v[30:31], v[34:35], -v[38:39]
	v_fmac_f64_e32 v[40:41], v[32:33], v[34:35]
	global_load_dwordx4 v[34:37], v[42:43], off offset:832
	ds_read_b128 v[30:33], v92 offset:15120
	ds_write_b128 v92, v[38:41] offset:13440
	s_waitcnt vmcnt(0) lgkmcnt(1)
	v_mul_f64 v[38:39], v[32:33], v[36:37]
	v_mul_f64 v[40:41], v[30:31], v[36:37]
	v_fma_f64 v[38:39], v[30:31], v[34:35], -v[38:39]
	v_fmac_f64_e32 v[40:41], v[32:33], v[34:35]
	global_load_dwordx4 v[34:37], v[42:43], off offset:2512
	ds_read_b128 v[30:33], v92 offset:16800
	ds_write_b128 v92, v[38:41] offset:15120
	s_waitcnt vmcnt(0) lgkmcnt(1)
	v_mul_f64 v[38:39], v[32:33], v[36:37]
	v_mul_f64 v[40:41], v[30:31], v[36:37]
	v_fma_f64 v[38:39], v[30:31], v[34:35], -v[38:39]
	v_fmac_f64_e32 v[40:41], v[32:33], v[34:35]
	ds_write_b128 v92, v[38:41] offset:16800
	s_and_saveexec_b64 s[8:9], vcc
	s_cbranch_execz .LBB0_13
; %bb.12:
	global_load_dwordx4 v[34:37], v[28:29], off offset:880
	ds_read_b128 v[30:33], v92 offset:880
	v_add_co_u32_e64 v42, s[2:3], s14, v28
	s_waitcnt vmcnt(0) lgkmcnt(0)
	v_mul_f64 v[38:39], v[32:33], v[36:37]
	v_mul_f64 v[40:41], v[30:31], v[36:37]
	v_fma_f64 v[38:39], v[30:31], v[34:35], -v[38:39]
	v_fmac_f64_e32 v[40:41], v[32:33], v[34:35]
	global_load_dwordx4 v[34:37], v[28:29], off offset:2560
	ds_read_b128 v[30:33], v92 offset:2560
	ds_write_b128 v92, v[38:41] offset:880
	v_addc_co_u32_e64 v43, s[2:3], 0, v29, s[2:3]
	s_movk_i32 s2, 0x2000
	s_waitcnt vmcnt(0) lgkmcnt(1)
	v_mul_f64 v[38:39], v[32:33], v[36:37]
	v_mul_f64 v[40:41], v[30:31], v[36:37]
	v_fma_f64 v[38:39], v[30:31], v[34:35], -v[38:39]
	v_fmac_f64_e32 v[40:41], v[32:33], v[34:35]
	global_load_dwordx4 v[34:37], v[42:43], off offset:144
	ds_read_b128 v[30:33], v92 offset:4240
	ds_write_b128 v92, v[38:41] offset:2560
	s_waitcnt vmcnt(0) lgkmcnt(1)
	v_mul_f64 v[38:39], v[32:33], v[36:37]
	v_mul_f64 v[40:41], v[30:31], v[36:37]
	v_fma_f64 v[38:39], v[30:31], v[34:35], -v[38:39]
	v_fmac_f64_e32 v[40:41], v[32:33], v[34:35]
	global_load_dwordx4 v[34:37], v[42:43], off offset:1824
	ds_read_b128 v[30:33], v92 offset:5920
	ds_write_b128 v92, v[38:41] offset:4240
	s_waitcnt vmcnt(0) lgkmcnt(1)
	v_mul_f64 v[38:39], v[32:33], v[36:37]
	v_mul_f64 v[40:41], v[30:31], v[36:37]
	v_fma_f64 v[38:39], v[30:31], v[34:35], -v[38:39]
	v_fmac_f64_e32 v[40:41], v[32:33], v[34:35]
	global_load_dwordx4 v[34:37], v[42:43], off offset:3504
	ds_read_b128 v[30:33], v92 offset:7600
	v_add_co_u32_e64 v42, s[2:3], s2, v28
	ds_write_b128 v92, v[38:41] offset:5920
	s_nop 0
	v_addc_co_u32_e64 v43, s[2:3], 0, v29, s[2:3]
	s_movk_i32 s2, 0x3000
	s_waitcnt vmcnt(0) lgkmcnt(1)
	v_mul_f64 v[38:39], v[32:33], v[36:37]
	v_mul_f64 v[40:41], v[30:31], v[36:37]
	v_fma_f64 v[38:39], v[30:31], v[34:35], -v[38:39]
	v_fmac_f64_e32 v[40:41], v[32:33], v[34:35]
	global_load_dwordx4 v[34:37], v[42:43], off offset:1088
	ds_read_b128 v[30:33], v92 offset:9280
	ds_write_b128 v92, v[38:41] offset:7600
	s_waitcnt vmcnt(0) lgkmcnt(1)
	v_mul_f64 v[38:39], v[32:33], v[36:37]
	v_mul_f64 v[40:41], v[30:31], v[36:37]
	v_fma_f64 v[38:39], v[30:31], v[34:35], -v[38:39]
	v_fmac_f64_e32 v[40:41], v[32:33], v[34:35]
	global_load_dwordx4 v[34:37], v[42:43], off offset:2768
	ds_read_b128 v[30:33], v92 offset:10960
	v_add_co_u32_e64 v42, s[2:3], s2, v28
	ds_write_b128 v92, v[38:41] offset:9280
	s_nop 0
	v_addc_co_u32_e64 v43, s[2:3], 0, v29, s[2:3]
	v_add_co_u32_e64 v28, s[2:3], s12, v28
	s_waitcnt vmcnt(0) lgkmcnt(1)
	v_mul_f64 v[38:39], v[32:33], v[36:37]
	v_mul_f64 v[40:41], v[30:31], v[36:37]
	v_fma_f64 v[38:39], v[30:31], v[34:35], -v[38:39]
	v_fmac_f64_e32 v[40:41], v[32:33], v[34:35]
	global_load_dwordx4 v[34:37], v[42:43], off offset:352
	ds_read_b128 v[30:33], v92 offset:12640
	ds_write_b128 v92, v[38:41] offset:10960
	v_addc_co_u32_e64 v29, s[2:3], 0, v29, s[2:3]
	s_waitcnt vmcnt(0) lgkmcnt(1)
	v_mul_f64 v[38:39], v[32:33], v[36:37]
	v_mul_f64 v[40:41], v[30:31], v[36:37]
	v_fma_f64 v[38:39], v[30:31], v[34:35], -v[38:39]
	v_fmac_f64_e32 v[40:41], v[32:33], v[34:35]
	global_load_dwordx4 v[34:37], v[42:43], off offset:2032
	ds_read_b128 v[30:33], v92 offset:14320
	ds_write_b128 v92, v[38:41] offset:12640
	s_waitcnt vmcnt(0) lgkmcnt(1)
	v_mul_f64 v[38:39], v[32:33], v[36:37]
	v_mul_f64 v[40:41], v[30:31], v[36:37]
	v_fma_f64 v[38:39], v[30:31], v[34:35], -v[38:39]
	v_fmac_f64_e32 v[40:41], v[32:33], v[34:35]
	global_load_dwordx4 v[34:37], v[42:43], off offset:3712
	ds_read_b128 v[30:33], v92 offset:16000
	ds_write_b128 v92, v[38:41] offset:14320
	;; [unrolled: 8-line block ×3, first 2 shown]
	s_waitcnt vmcnt(0) lgkmcnt(1)
	v_mul_f64 v[28:29], v[32:33], v[36:37]
	v_fma_f64 v[28:29], v[30:31], v[34:35], -v[28:29]
	v_mul_f64 v[30:31], v[30:31], v[36:37]
	v_fmac_f64_e32 v[30:31], v[32:33], v[34:35]
	ds_write_b128 v92, v[28:31] offset:17680
.LBB0_13:
	s_or_b64 exec, exec, s[8:9]
	s_waitcnt lgkmcnt(0)
	; wave barrier
	s_waitcnt lgkmcnt(0)
	ds_read_b128 v[60:63], v92
	ds_read_b128 v[68:71], v92 offset:1680
	ds_read_b128 v[56:59], v92 offset:3360
	;; [unrolled: 1-line block ×10, first 2 shown]
	s_and_saveexec_b64 s[2:3], vcc
	s_cbranch_execz .LBB0_15
; %bb.14:
	ds_read_b128 v[244:247], v92 offset:880
	ds_read_b128 v[4:7], v92 offset:2560
	;; [unrolled: 1-line block ×11, first 2 shown]
.LBB0_15:
	s_or_b64 exec, exec, s[2:3]
	s_waitcnt lgkmcnt(9)
	v_add_f64 v[52:53], v[60:61], v[68:69]
	v_add_f64 v[54:55], v[62:63], v[70:71]
	s_waitcnt lgkmcnt(8)
	v_add_f64 v[52:53], v[52:53], v[56:57]
	v_add_f64 v[54:55], v[54:55], v[58:59]
	;; [unrolled: 3-line block ×7, first 2 shown]
	s_waitcnt lgkmcnt(2)
	v_add_f64 v[52:53], v[52:53], v[48:49]
	s_mov_b32 s12, 0xf8bb580b
	s_mov_b32 s36, 0x8eee2c13
	;; [unrolled: 1-line block ×5, first 2 shown]
	v_add_f64 v[54:55], v[54:55], v[50:51]
	s_waitcnt lgkmcnt(1)
	v_add_f64 v[52:53], v[52:53], v[64:65]
	s_waitcnt lgkmcnt(0)
	v_add_f64 v[78:79], v[70:71], v[74:75]
	v_add_f64 v[70:71], v[70:71], -v[74:75]
	s_mov_b32 s13, 0xbfe14ced
	s_mov_b32 s2, 0x8764f0ba
	;; [unrolled: 1-line block ×10, first 2 shown]
	v_add_f64 v[54:55], v[54:55], v[66:67]
	v_add_f64 v[52:53], v[52:53], v[72:73]
	;; [unrolled: 1-line block ×3, first 2 shown]
	v_add_f64 v[68:69], v[68:69], -v[72:73]
	v_mul_f64 v[72:73], v[70:71], s[12:13]
	s_mov_b32 s3, 0x3feaeb8c
	v_mul_f64 v[84:85], v[70:71], s[36:37]
	s_mov_b32 s9, 0x3fda9628
	;; [unrolled: 2-line block ×5, first 2 shown]
	v_add_f64 v[54:55], v[54:55], v[74:75]
	v_fma_f64 v[74:75], s[2:3], v[76:77], v[72:73]
	v_fma_f64 v[72:73], v[76:77], s[2:3], -v[72:73]
	v_fma_f64 v[86:87], s[8:9], v[76:77], v[84:85]
	v_fma_f64 v[84:85], v[76:77], s[8:9], -v[84:85]
	;; [unrolled: 2-line block ×5, first 2 shown]
	v_add_f64 v[74:75], v[60:61], v[74:75]
	v_mul_f64 v[80:81], v[78:79], s[2:3]
	s_mov_b32 s31, 0x3fe14ced
	s_mov_b32 s30, s12
	v_add_f64 v[72:73], v[60:61], v[72:73]
	v_add_f64 v[86:87], v[60:61], v[86:87]
	v_mul_f64 v[88:89], v[78:79], s[8:9]
	s_mov_b32 s17, 0x3fed1bb4
	s_mov_b32 s16, s36
	v_add_f64 v[84:85], v[60:61], v[84:85]
	;; [unrolled: 5-line block ×5, first 2 shown]
	v_add_f64 v[70:71], v[58:59], v[66:67]
	v_add_f64 v[58:59], v[58:59], -v[66:67]
	v_fma_f64 v[82:83], s[30:31], v[68:69], v[80:81]
	v_fmac_f64_e32 v[80:81], s[12:13], v[68:69]
	v_fma_f64 v[90:91], s[16:17], v[68:69], v[88:89]
	v_fmac_f64_e32 v[88:89], s[36:37], v[68:69]
	;; [unrolled: 2-line block ×5, first 2 shown]
	v_add_f64 v[68:69], v[56:57], v[64:65]
	v_add_f64 v[56:57], v[56:57], -v[64:65]
	v_mul_f64 v[64:65], v[58:59], s[36:37]
	v_fma_f64 v[66:67], s[8:9], v[68:69], v[64:65]
	v_add_f64 v[66:67], v[66:67], v[74:75]
	v_mul_f64 v[74:75], v[70:71], s[8:9]
	v_add_f64 v[80:81], v[62:63], v[80:81]
	v_fma_f64 v[76:77], s[16:17], v[56:57], v[74:75]
	v_fma_f64 v[64:65], v[68:69], s[8:9], -v[64:65]
	v_fmac_f64_e32 v[74:75], s[36:37], v[56:57]
	v_add_f64 v[64:65], v[64:65], v[72:73]
	v_add_f64 v[72:73], v[74:75], v[80:81]
	v_mul_f64 v[74:75], v[58:59], s[24:25]
	v_add_f64 v[82:83], v[62:63], v[82:83]
	v_add_f64 v[90:91], v[62:63], v[90:91]
	;; [unrolled: 1-line block ×9, first 2 shown]
	v_fma_f64 v[78:79], s[20:21], v[68:69], v[74:75]
	v_mul_f64 v[80:81], v[70:71], s[20:21]
	v_fma_f64 v[74:75], v[68:69], s[20:21], -v[74:75]
	v_add_f64 v[76:77], v[76:77], v[82:83]
	v_fma_f64 v[82:83], s[38:39], v[56:57], v[80:81]
	v_add_f64 v[74:75], v[74:75], v[84:85]
	v_fmac_f64_e32 v[80:81], s[24:25], v[56:57]
	v_mul_f64 v[84:85], v[58:59], s[26:27]
	v_add_f64 v[78:79], v[78:79], v[86:87]
	v_add_f64 v[80:81], v[80:81], v[88:89]
	v_fma_f64 v[86:87], s[22:23], v[68:69], v[84:85]
	v_mul_f64 v[88:89], v[70:71], s[22:23]
	v_fma_f64 v[84:85], v[68:69], s[22:23], -v[84:85]
	v_add_f64 v[82:83], v[82:83], v[90:91]
	v_fma_f64 v[90:91], s[34:35], v[56:57], v[88:89]
	v_add_f64 v[84:85], v[84:85], v[94:95]
	v_fmac_f64_e32 v[88:89], s[26:27], v[56:57]
	v_mul_f64 v[94:95], v[58:59], s[28:29]
	v_add_f64 v[86:87], v[86:87], v[96:97]
	v_add_f64 v[88:89], v[88:89], v[98:99]
	v_fma_f64 v[96:97], s[14:15], v[68:69], v[94:95]
	v_mul_f64 v[98:99], v[70:71], s[14:15]
	v_mul_f64 v[70:71], v[70:71], s[2:3]
	v_add_f64 v[96:97], v[96:97], v[104:105]
	v_fma_f64 v[94:95], v[68:69], s[14:15], -v[94:95]
	v_mul_f64 v[58:59], v[58:59], s[30:31]
	v_fma_f64 v[104:105], s[12:13], v[56:57], v[70:71]
	v_fmac_f64_e32 v[70:71], s[30:31], v[56:57]
	v_add_f64 v[90:91], v[90:91], v[100:101]
	v_fma_f64 v[100:101], s[18:19], v[56:57], v[98:99]
	v_add_f64 v[94:95], v[94:95], v[102:103]
	v_fmac_f64_e32 v[98:99], s[28:29], v[56:57]
	v_fma_f64 v[102:103], s[2:3], v[68:69], v[58:59]
	v_fma_f64 v[58:59], v[68:69], s[2:3], -v[58:59]
	v_add_f64 v[56:57], v[70:71], v[62:63]
	v_add_f64 v[62:63], v[46:47], v[50:51]
	v_add_f64 v[46:47], v[46:47], -v[50:51]
	v_add_f64 v[58:59], v[58:59], v[60:61]
	v_add_f64 v[60:61], v[44:45], v[48:49]
	v_add_f64 v[44:45], v[44:45], -v[48:49]
	v_mul_f64 v[48:49], v[46:47], s[18:19]
	v_fma_f64 v[50:51], s[14:15], v[60:61], v[48:49]
	v_add_f64 v[50:51], v[50:51], v[66:67]
	v_mul_f64 v[66:67], v[62:63], s[14:15]
	v_fma_f64 v[68:69], s[28:29], v[44:45], v[66:67]
	v_fma_f64 v[48:49], v[60:61], s[14:15], -v[48:49]
	v_fmac_f64_e32 v[66:67], s[18:19], v[44:45]
	v_add_f64 v[48:49], v[48:49], v[64:65]
	v_add_f64 v[64:65], v[66:67], v[72:73]
	v_mul_f64 v[66:67], v[46:47], s[26:27]
	v_fma_f64 v[70:71], s[22:23], v[60:61], v[66:67]
	v_fma_f64 v[66:67], v[60:61], s[22:23], -v[66:67]
	v_mul_f64 v[72:73], v[62:63], s[22:23]
	v_add_f64 v[66:67], v[66:67], v[74:75]
	v_mul_f64 v[74:75], v[46:47], s[16:17]
	v_add_f64 v[68:69], v[68:69], v[76:77]
	v_add_f64 v[70:71], v[70:71], v[78:79]
	v_fma_f64 v[76:77], s[34:35], v[44:45], v[72:73]
	v_fmac_f64_e32 v[72:73], s[26:27], v[44:45]
	v_fma_f64 v[78:79], s[8:9], v[60:61], v[74:75]
	v_fma_f64 v[74:75], v[60:61], s[8:9], -v[74:75]
	v_add_f64 v[72:73], v[72:73], v[80:81]
	v_mul_f64 v[80:81], v[62:63], s[8:9]
	v_add_f64 v[74:75], v[74:75], v[84:85]
	v_mul_f64 v[84:85], v[46:47], s[12:13]
	v_add_f64 v[76:77], v[76:77], v[82:83]
	v_add_f64 v[78:79], v[78:79], v[86:87]
	v_fma_f64 v[82:83], s[36:37], v[44:45], v[80:81]
	v_fmac_f64_e32 v[80:81], s[16:17], v[44:45]
	v_fma_f64 v[86:87], s[2:3], v[60:61], v[84:85]
	v_fma_f64 v[84:85], v[60:61], s[2:3], -v[84:85]
	v_mul_f64 v[46:47], v[46:47], s[24:25]
	v_add_f64 v[80:81], v[80:81], v[88:89]
	v_mul_f64 v[88:89], v[62:63], s[2:3]
	v_add_f64 v[84:85], v[84:85], v[94:95]
	v_fma_f64 v[94:95], s[20:21], v[60:61], v[46:47]
	v_mul_f64 v[62:63], v[62:63], s[20:21]
	v_fma_f64 v[46:47], v[60:61], s[20:21], -v[46:47]
	v_add_f64 v[86:87], v[86:87], v[96:97]
	v_fma_f64 v[96:97], s[38:39], v[44:45], v[62:63]
	v_add_f64 v[46:47], v[46:47], v[58:59]
	v_fmac_f64_e32 v[62:63], s[24:25], v[44:45]
	v_add_f64 v[58:59], v[38:39], v[42:43]
	v_add_f64 v[38:39], v[38:39], -v[42:43]
	v_add_f64 v[82:83], v[82:83], v[90:91]
	v_fma_f64 v[90:91], s[30:31], v[44:45], v[88:89]
	v_fmac_f64_e32 v[88:89], s[12:13], v[44:45]
	v_add_f64 v[44:45], v[62:63], v[56:57]
	v_add_f64 v[56:57], v[36:37], v[40:41]
	v_add_f64 v[36:37], v[36:37], -v[40:41]
	v_mul_f64 v[40:41], v[38:39], s[24:25]
	v_fma_f64 v[42:43], s[20:21], v[56:57], v[40:41]
	v_add_f64 v[42:43], v[42:43], v[50:51]
	v_mul_f64 v[50:51], v[58:59], s[20:21]
	v_fma_f64 v[60:61], s[38:39], v[36:37], v[50:51]
	v_fma_f64 v[40:41], v[56:57], s[20:21], -v[40:41]
	v_fmac_f64_e32 v[50:51], s[24:25], v[36:37]
	v_add_f64 v[40:41], v[40:41], v[48:49]
	v_add_f64 v[48:49], v[50:51], v[64:65]
	v_mul_f64 v[50:51], v[38:39], s[28:29]
	v_fma_f64 v[62:63], s[14:15], v[56:57], v[50:51]
	v_mul_f64 v[64:65], v[58:59], s[14:15]
	v_fma_f64 v[50:51], v[56:57], s[14:15], -v[50:51]
	v_add_f64 v[60:61], v[60:61], v[68:69]
	v_fma_f64 v[68:69], s[18:19], v[36:37], v[64:65]
	v_add_f64 v[50:51], v[50:51], v[66:67]
	v_fmac_f64_e32 v[64:65], s[28:29], v[36:37]
	v_mul_f64 v[66:67], v[38:39], s[12:13]
	v_add_f64 v[62:63], v[62:63], v[70:71]
	v_add_f64 v[64:65], v[64:65], v[72:73]
	v_fma_f64 v[70:71], s[2:3], v[56:57], v[66:67]
	v_mul_f64 v[72:73], v[58:59], s[2:3]
	v_fma_f64 v[66:67], v[56:57], s[2:3], -v[66:67]
	v_add_f64 v[68:69], v[68:69], v[76:77]
	v_fma_f64 v[76:77], s[30:31], v[36:37], v[72:73]
	v_add_f64 v[66:67], v[66:67], v[74:75]
	v_fmac_f64_e32 v[72:73], s[12:13], v[36:37]
	v_mul_f64 v[74:75], v[38:39], s[34:35]
	v_add_f64 v[70:71], v[70:71], v[78:79]
	v_add_f64 v[72:73], v[72:73], v[80:81]
	v_fma_f64 v[78:79], s[22:23], v[56:57], v[74:75]
	v_mul_f64 v[80:81], v[58:59], s[22:23]
	v_mul_f64 v[58:59], v[58:59], s[8:9]
	v_add_f64 v[78:79], v[78:79], v[86:87]
	v_fma_f64 v[86:87], s[36:37], v[36:37], v[58:59]
	v_fmac_f64_e32 v[58:59], s[16:17], v[36:37]
	v_fma_f64 v[74:75], v[56:57], s[22:23], -v[74:75]
	v_mul_f64 v[38:39], v[38:39], s[16:17]
	v_add_f64 v[44:45], v[58:59], v[44:45]
	v_add_f64 v[58:59], v[30:31], v[34:35]
	v_add_f64 v[30:31], v[30:31], -v[34:35]
	v_add_f64 v[74:75], v[74:75], v[84:85]
	v_fma_f64 v[84:85], s[8:9], v[56:57], v[38:39]
	v_fma_f64 v[38:39], v[56:57], s[8:9], -v[38:39]
	v_add_f64 v[56:57], v[28:29], v[32:33]
	v_add_f64 v[28:29], v[28:29], -v[32:33]
	v_mul_f64 v[32:33], v[30:31], s[34:35]
	v_fma_f64 v[34:35], s[22:23], v[56:57], v[32:33]
	v_add_f64 v[76:77], v[76:77], v[82:83]
	v_fma_f64 v[82:83], s[26:27], v[36:37], v[80:81]
	v_fmac_f64_e32 v[80:81], s[34:35], v[36:37]
	v_add_f64 v[36:37], v[34:35], v[42:43]
	v_mul_f64 v[34:35], v[58:59], s[22:23]
	v_fma_f64 v[32:33], v[56:57], s[22:23], -v[32:33]
	v_add_f64 v[46:47], v[38:39], v[46:47]
	v_fma_f64 v[38:39], s[26:27], v[28:29], v[34:35]
	v_add_f64 v[162:163], v[32:33], v[40:41]
	v_fmac_f64_e32 v[34:35], s[34:35], v[28:29]
	v_mul_f64 v[32:33], v[30:31], s[30:31]
	v_add_f64 v[164:165], v[34:35], v[48:49]
	v_fma_f64 v[34:35], s[2:3], v[56:57], v[32:33]
	v_add_f64 v[166:167], v[34:35], v[62:63]
	v_mul_f64 v[34:35], v[58:59], s[2:3]
	v_fma_f64 v[32:33], v[56:57], s[2:3], -v[32:33]
	v_fma_f64 v[40:41], s[12:13], v[28:29], v[34:35]
	v_add_f64 v[170:171], v[32:33], v[50:51]
	v_fmac_f64_e32 v[34:35], s[30:31], v[28:29]
	v_mul_f64 v[32:33], v[30:31], s[24:25]
	v_add_f64 v[172:173], v[34:35], v[64:65]
	v_fma_f64 v[34:35], s[20:21], v[56:57], v[32:33]
	v_add_f64 v[174:175], v[34:35], v[70:71]
	v_mul_f64 v[34:35], v[58:59], s[20:21]
	v_fma_f64 v[32:33], v[56:57], s[20:21], -v[32:33]
	v_add_f64 v[168:169], v[40:41], v[68:69]
	v_fma_f64 v[40:41], s[38:39], v[28:29], v[34:35]
	v_add_f64 v[178:179], v[32:33], v[66:67]
	v_fmac_f64_e32 v[34:35], s[24:25], v[28:29]
	v_mul_f64 v[32:33], v[30:31], s[16:17]
	v_add_f64 v[100:101], v[100:101], v[108:109]
	v_add_f64 v[102:103], v[102:103], v[110:111]
	v_add_f64 v[180:181], v[34:35], v[72:73]
	v_fma_f64 v[34:35], s[8:9], v[56:57], v[32:33]
	v_add_f64 v[98:99], v[98:99], v[106:107]
	v_add_f64 v[90:91], v[90:91], v[100:101]
	;; [unrolled: 1-line block ×4, first 2 shown]
	v_mul_f64 v[34:35], v[58:59], s[8:9]
	v_fma_f64 v[32:33], v[56:57], s[8:9], -v[32:33]
	v_mul_f64 v[30:31], v[30:31], s[18:19]
	v_add_f64 v[104:105], v[104:105], v[112:113]
	v_add_f64 v[88:89], v[88:89], v[98:99]
	;; [unrolled: 1-line block ×5, first 2 shown]
	v_fma_f64 v[40:41], s[36:37], v[28:29], v[34:35]
	v_add_f64 v[186:187], v[32:33], v[74:75]
	v_fma_f64 v[32:33], s[14:15], v[56:57], v[30:31]
	v_add_f64 v[96:97], v[96:97], v[104:105]
	v_add_f64 v[80:81], v[80:81], v[88:89]
	;; [unrolled: 1-line block ×3, first 2 shown]
	v_fmac_f64_e32 v[34:35], s[16:17], v[28:29]
	v_add_f64 v[190:191], v[32:33], v[84:85]
	v_mul_f64 v[32:33], v[58:59], s[14:15]
	v_add_f64 v[82:83], v[6:7], -v[226:227]
	v_add_f64 v[86:87], v[86:87], v[96:97]
	v_add_f64 v[188:189], v[34:35], v[80:81]
	v_fma_f64 v[34:35], s[28:29], v[28:29], v[32:33]
	v_fmac_f64_e32 v[32:33], s[18:19], v[28:29]
	v_add_f64 v[58:59], v[4:5], v[224:225]
	v_add_f64 v[68:69], v[6:7], v[226:227]
	v_mul_f64 v[40:41], v[82:83], s[12:13]
	v_add_f64 v[96:97], v[10:11], -v[2:3]
	v_fma_f64 v[30:31], v[56:57], s[14:15], -v[30:31]
	v_add_f64 v[196:197], v[32:33], v[44:45]
	v_add_f64 v[76:77], v[4:5], -v[224:225]
	v_mul_f64 v[42:43], v[68:69], s[2:3]
	v_fma_f64 v[28:29], v[58:59], s[2:3], -v[40:41]
	v_add_f64 v[70:71], v[8:9], v[0:1]
	v_add_f64 v[84:85], v[10:11], v[2:3]
	v_mul_f64 v[44:45], v[96:97], s[36:37]
	v_add_f64 v[194:195], v[30:31], v[46:47]
	v_add_f64 v[28:29], v[244:245], v[28:29]
	v_fma_f64 v[30:31], s[12:13], v[76:77], v[42:43]
	v_mul_f64 v[46:47], v[82:83], s[36:37]
	v_add_f64 v[104:105], v[8:9], -v[0:1]
	v_mul_f64 v[48:49], v[84:85], s[8:9]
	v_fma_f64 v[50:51], v[70:71], s[8:9], -v[44:45]
	v_add_f64 v[38:39], v[38:39], v[60:61]
	v_add_f64 v[30:31], v[246:247], v[30:31]
	v_mul_f64 v[56:57], v[68:69], s[8:9]
	v_fma_f64 v[32:33], v[58:59], s[8:9], -v[46:47]
	v_add_f64 v[28:29], v[50:51], v[28:29]
	v_fma_f64 v[50:51], s[36:37], v[104:105], v[48:49]
	v_mul_f64 v[60:61], v[96:97], s[24:25]
	v_add_f64 v[192:193], v[34:35], v[86:87]
	v_add_f64 v[32:33], v[244:245], v[32:33]
	v_fma_f64 v[34:35], s[36:37], v[76:77], v[56:57]
	v_add_f64 v[30:31], v[50:51], v[30:31]
	v_mul_f64 v[66:67], v[84:85], s[20:21]
	v_fma_f64 v[50:51], v[70:71], s[20:21], -v[60:61]
	v_add_f64 v[34:35], v[246:247], v[34:35]
	v_add_f64 v[32:33], v[50:51], v[32:33]
	v_fma_f64 v[50:51], s[24:25], v[104:105], v[66:67]
	v_add_f64 v[108:109], v[250:251], -v[26:27]
	v_add_f64 v[34:35], v[50:51], v[34:35]
	v_add_f64 v[86:87], v[248:249], v[24:25]
	;; [unrolled: 1-line block ×3, first 2 shown]
	v_mul_f64 v[50:51], v[108:109], s[18:19]
	v_add_f64 v[114:115], v[248:249], -v[24:25]
	v_mul_f64 v[62:63], v[98:99], s[14:15]
	v_fma_f64 v[64:65], v[86:87], s[14:15], -v[50:51]
	v_add_f64 v[28:29], v[64:65], v[28:29]
	v_fma_f64 v[64:65], s[18:19], v[114:115], v[62:63]
	v_mul_f64 v[72:73], v[108:109], s[26:27]
	v_add_f64 v[30:31], v[64:65], v[30:31]
	v_mul_f64 v[94:95], v[98:99], s[22:23]
	v_fma_f64 v[64:65], v[86:87], s[22:23], -v[72:73]
	v_add_f64 v[32:33], v[64:65], v[32:33]
	v_fma_f64 v[64:65], s[26:27], v[114:115], v[94:95]
	v_add_f64 v[118:119], v[14:15], -v[22:23]
	v_add_f64 v[34:35], v[64:65], v[34:35]
	v_add_f64 v[100:101], v[12:13], v[20:21]
	;; [unrolled: 1-line block ×3, first 2 shown]
	v_mul_f64 v[64:65], v[118:119], s[24:25]
	v_add_f64 v[120:121], v[12:13], -v[20:21]
	v_mul_f64 v[74:75], v[110:111], s[20:21]
	v_fma_f64 v[78:79], v[100:101], s[20:21], -v[64:65]
	v_add_f64 v[28:29], v[78:79], v[28:29]
	v_fma_f64 v[78:79], s[24:25], v[120:121], v[74:75]
	v_mul_f64 v[88:89], v[118:119], s[28:29]
	v_add_f64 v[30:31], v[78:79], v[30:31]
	v_mul_f64 v[78:79], v[110:111], s[14:15]
	v_fma_f64 v[80:81], v[100:101], s[14:15], -v[88:89]
	v_add_f64 v[122:123], v[18:19], -v[254:255]
	v_add_f64 v[198:199], v[80:81], v[32:33]
	v_fma_f64 v[32:33], s[28:29], v[120:121], v[78:79]
	v_add_f64 v[112:113], v[16:17], v[252:253]
	v_add_f64 v[116:117], v[18:19], v[254:255]
	v_mul_f64 v[80:81], v[122:123], s[34:35]
	v_add_f64 v[200:201], v[32:33], v[34:35]
	v_add_f64 v[160:161], v[16:17], -v[252:253]
	v_mul_f64 v[90:91], v[116:117], s[22:23]
	v_fma_f64 v[32:33], v[112:113], s[22:23], -v[80:81]
	v_add_f64 v[32:33], v[32:33], v[28:29]
	v_fma_f64 v[28:29], s[34:35], v[160:161], v[90:91]
	v_mul_f64 v[102:103], v[122:123], s[30:31]
	v_mul_f64 v[106:107], v[116:117], s[2:3]
	v_add_f64 v[34:35], v[28:29], v[30:31]
	v_fma_f64 v[28:29], v[112:113], s[2:3], -v[102:103]
	v_fma_f64 v[30:31], s[30:31], v[160:161], v[106:107]
	v_add_f64 v[28:29], v[28:29], v[198:199]
	v_add_f64 v[30:31], v[30:31], v[200:201]
	s_waitcnt lgkmcnt(0)
	; wave barrier
	ds_write_b128 v93, v[52:55]
	ds_write_b128 v93, v[36:39] offset:16
	ds_write_b128 v93, v[166:169] offset:32
	;; [unrolled: 1-line block ×10, first 2 shown]
	s_and_saveexec_b64 s[38:39], vcc
	s_cbranch_execz .LBB0_17
; %bb.16:
	v_accvgpr_write_b32 a160, v210
	v_accvgpr_write_b32 a161, v211
	v_accvgpr_write_b32 a162, v212
	v_accvgpr_write_b32 a163, v213
	v_mul_f64 v[210:211], v[76:77], s[34:35]
	v_mul_f64 v[166:167], v[104:105], s[30:31]
	v_fma_f64 v[212:213], s[22:23], v[68:69], v[210:211]
	v_fma_f64 v[210:211], v[68:69], s[22:23], -v[210:211]
	v_mul_f64 v[162:163], v[114:115], s[24:25]
	v_fma_f64 v[168:169], s[2:3], v[84:85], v[166:167]
	v_fma_f64 v[166:167], v[84:85], s[2:3], -v[166:167]
	v_add_f64 v[210:211], v[246:247], v[210:211]
	v_mul_f64 v[54:55], v[120:121], s[16:17]
	v_fma_f64 v[164:165], s[20:21], v[98:99], v[162:163]
	v_fma_f64 v[162:163], v[98:99], s[20:21], -v[162:163]
	v_add_f64 v[166:167], v[166:167], v[210:211]
	v_mul_f64 v[52:53], v[160:161], s[18:19]
	v_fma_f64 v[38:39], s[8:9], v[110:111], v[54:55]
	v_accvgpr_write_b32 a129, v222
	v_accvgpr_write_b32 a130, v223
	v_mul_f64 v[222:223], v[82:83], s[34:35]
	v_accvgpr_write_b32 a4, v228
	v_fma_f64 v[54:55], v[110:111], s[8:9], -v[54:55]
	v_add_f64 v[162:163], v[162:163], v[166:167]
	v_fma_f64 v[36:37], s[14:15], v[116:117], v[52:53]
	v_add_f64 v[212:213], v[246:247], v[212:213]
	v_accvgpr_write_b32 a0, v218
	v_accvgpr_write_b32 a128, v219
	v_mul_f64 v[218:219], v[96:97], s[30:31]
	v_accvgpr_write_b32 a5, v229
	v_accvgpr_write_b32 a6, v230
	;; [unrolled: 1-line block ×3, first 2 shown]
	v_fma_f64 v[228:229], v[58:59], s[22:23], -v[222:223]
	v_fma_f64 v[52:53], v[116:117], s[14:15], -v[52:53]
	v_add_f64 v[54:55], v[54:55], v[162:163]
	v_fmac_f64_e32 v[222:223], s[22:23], v[58:59]
	v_add_f64 v[168:169], v[168:169], v[212:213]
	v_accvgpr_write_b32 a1, v214
	v_accvgpr_write_b32 a3, v215
	v_mul_f64 v[214:215], v[108:109], s[24:25]
	v_accvgpr_write_b32 a2, v220
	v_mov_b32_e32 v93, v221
	v_fma_f64 v[220:221], v[70:71], s[2:3], -v[218:219]
	v_add_f64 v[228:229], v[244:245], v[228:229]
	v_add_f64 v[54:55], v[52:53], v[54:55]
	v_fmac_f64_e32 v[218:219], s[2:3], v[70:71]
	v_add_f64 v[52:53], v[244:245], v[222:223]
	v_add_f64 v[164:165], v[164:165], v[168:169]
	v_mul_f64 v[168:169], v[118:119], s[16:17]
	v_fma_f64 v[216:217], v[86:87], s[20:21], -v[214:215]
	v_add_f64 v[220:221], v[220:221], v[228:229]
	v_fmac_f64_e32 v[214:215], s[20:21], v[86:87]
	v_add_f64 v[52:53], v[218:219], v[52:53]
	v_mul_f64 v[218:219], v[76:77], s[24:25]
	v_add_f64 v[38:39], v[38:39], v[164:165]
	v_mul_f64 v[164:165], v[122:123], s[18:19]
	v_fma_f64 v[212:213], v[100:101], s[8:9], -v[168:169]
	v_add_f64 v[216:217], v[216:217], v[220:221]
	v_add_f64 v[52:53], v[214:215], v[52:53]
	v_mul_f64 v[214:215], v[104:105], s[28:29]
	v_fma_f64 v[220:221], s[20:21], v[68:69], v[218:219]
	v_fma_f64 v[218:219], v[68:69], s[20:21], -v[218:219]
	v_add_f64 v[38:39], v[36:37], v[38:39]
	v_fma_f64 v[36:37], v[112:113], s[14:15], -v[164:165]
	v_add_f64 v[212:213], v[212:213], v[216:217]
	v_fmac_f64_e32 v[168:169], s[8:9], v[100:101]
	v_mul_f64 v[210:211], v[114:115], s[12:13]
	v_fma_f64 v[216:217], s[14:15], v[84:85], v[214:215]
	v_fma_f64 v[214:215], v[84:85], s[14:15], -v[214:215]
	v_add_f64 v[218:219], v[246:247], v[218:219]
	v_add_f64 v[36:37], v[36:37], v[212:213]
	v_fmac_f64_e32 v[164:165], s[14:15], v[112:113]
	v_add_f64 v[52:53], v[168:169], v[52:53]
	v_mul_f64 v[168:169], v[120:121], s[34:35]
	v_fma_f64 v[212:213], s[2:3], v[98:99], v[210:211]
	v_accvgpr_write_b32 a8, v232
	v_fma_f64 v[210:211], v[98:99], s[2:3], -v[210:211]
	v_add_f64 v[214:215], v[214:215], v[218:219]
	v_add_f64 v[52:53], v[164:165], v[52:53]
	v_mul_f64 v[166:167], v[160:161], s[16:17]
	v_fma_f64 v[164:165], s[22:23], v[110:111], v[168:169]
	v_accvgpr_write_b32 a9, v233
	v_accvgpr_write_b32 a10, v234
	;; [unrolled: 1-line block ×3, first 2 shown]
	v_mul_f64 v[234:235], v[82:83], s[24:25]
	v_fma_f64 v[168:169], v[110:111], s[22:23], -v[168:169]
	v_add_f64 v[210:211], v[210:211], v[214:215]
	v_fma_f64 v[162:163], s[8:9], v[116:117], v[166:167]
	v_add_f64 v[220:221], v[246:247], v[220:221]
	v_mul_f64 v[230:231], v[96:97], s[28:29]
	v_fma_f64 v[236:237], v[58:59], s[20:21], -v[234:235]
	v_fma_f64 v[166:167], v[116:117], s[8:9], -v[166:167]
	v_add_f64 v[168:169], v[168:169], v[210:211]
	v_fmac_f64_e32 v[234:235], s[20:21], v[58:59]
	v_add_f64 v[216:217], v[216:217], v[220:221]
	v_mul_f64 v[222:223], v[108:109], s[12:13]
	v_fma_f64 v[232:233], v[70:71], s[14:15], -v[230:231]
	v_add_f64 v[236:237], v[244:245], v[236:237]
	v_add_f64 v[168:169], v[166:167], v[168:169]
	v_fmac_f64_e32 v[230:231], s[14:15], v[70:71]
	v_add_f64 v[166:167], v[244:245], v[234:235]
	v_mul_f64 v[172:173], v[76:77], s[12:13]
	v_mul_f64 v[176:177], v[76:77], s[36:37]
	v_add_f64 v[212:213], v[212:213], v[216:217]
	v_mul_f64 v[216:217], v[118:119], s[34:35]
	v_fma_f64 v[228:229], v[86:87], s[2:3], -v[222:223]
	v_add_f64 v[232:233], v[232:233], v[236:237]
	v_fmac_f64_e32 v[222:223], s[2:3], v[86:87]
	v_add_f64 v[166:167], v[230:231], v[166:167]
	v_mul_f64 v[76:77], v[76:77], s[18:19]
	v_mul_f64 v[180:181], v[104:105], s[36:37]
	;; [unrolled: 1-line block ×3, first 2 shown]
	v_add_f64 v[164:165], v[164:165], v[212:213]
	v_mul_f64 v[212:213], v[122:123], s[16:17]
	v_fma_f64 v[220:221], v[100:101], s[22:23], -v[216:217]
	v_add_f64 v[228:229], v[228:229], v[232:233]
	v_fmac_f64_e32 v[216:217], s[22:23], v[100:101]
	v_add_f64 v[166:167], v[222:223], v[166:167]
	v_mul_f64 v[104:105], v[104:105], s[26:27]
	v_fma_f64 v[218:219], s[14:15], v[68:69], v[76:77]
	v_fma_f64 v[68:69], v[68:69], s[14:15], -v[76:77]
	v_mul_f64 v[188:189], v[114:115], s[18:19]
	v_mul_f64 v[192:193], v[114:115], s[26:27]
	v_add_f64 v[164:165], v[162:163], v[164:165]
	v_fma_f64 v[162:163], v[112:113], s[8:9], -v[212:213]
	v_add_f64 v[220:221], v[220:221], v[228:229]
	v_fmac_f64_e32 v[212:213], s[8:9], v[112:113]
	v_add_f64 v[166:167], v[216:217], v[166:167]
	v_mul_f64 v[114:115], v[114:115], s[16:17]
	v_fma_f64 v[216:217], s[22:23], v[84:85], v[104:105]
	v_add_f64 v[218:219], v[246:247], v[218:219]
	v_mul_f64 v[82:83], v[82:83], s[18:19]
	v_fma_f64 v[84:85], v[84:85], s[22:23], -v[104:105]
	v_add_f64 v[68:69], v[246:247], v[68:69]
	v_add_f64 v[6:7], v[246:247], v[6:7]
	;; [unrolled: 1-line block ×3, first 2 shown]
	v_accvgpr_write_b32 a156, v204
	v_add_f64 v[162:163], v[162:163], v[220:221]
	v_add_f64 v[166:167], v[212:213], v[166:167]
	v_mul_f64 v[212:213], v[120:121], s[12:13]
	v_fma_f64 v[214:215], s[8:9], v[98:99], v[114:115]
	v_add_f64 v[216:217], v[216:217], v[218:219]
	v_mul_f64 v[96:97], v[96:97], s[26:27]
	v_fma_f64 v[220:221], v[58:59], s[14:15], -v[82:83]
	v_fma_f64 v[98:99], v[98:99], s[8:9], -v[114:115]
	v_add_f64 v[68:69], v[84:85], v[68:69]
	v_fmac_f64_e32 v[82:83], s[14:15], v[58:59]
	v_add_f64 v[56:57], v[56:57], -v[176:177]
	v_add_f64 v[6:7], v[6:7], v[10:11]
	v_add_f64 v[4:5], v[4:5], v[8:9]
	v_mul_f64 v[170:171], v[58:59], s[2:3]
	v_mul_f64 v[174:175], v[58:59], s[8:9]
	;; [unrolled: 1-line block ×4, first 2 shown]
	v_accvgpr_write_b32 a157, v205
	v_accvgpr_write_b32 a158, v206
	;; [unrolled: 1-line block ×3, first 2 shown]
	v_mul_f64 v[204:205], v[160:161], s[34:35]
	v_mul_f64 v[208:209], v[160:161], s[30:31]
	;; [unrolled: 1-line block ×3, first 2 shown]
	v_fma_f64 v[120:121], s[2:3], v[110:111], v[212:213]
	v_add_f64 v[214:215], v[214:215], v[216:217]
	v_mul_f64 v[108:109], v[108:109], s[16:17]
	v_fma_f64 v[218:219], v[70:71], s[22:23], -v[96:97]
	v_fma_f64 v[110:111], v[110:111], s[2:3], -v[212:213]
	v_add_f64 v[68:69], v[98:99], v[68:69]
	v_fmac_f64_e32 v[96:97], s[22:23], v[70:71]
	v_add_f64 v[58:59], v[244:245], v[82:83]
	v_add_f64 v[66:67], v[66:67], -v[184:185]
	v_add_f64 v[56:57], v[246:247], v[56:57]
	v_add_f64 v[6:7], v[6:7], v[250:251]
	;; [unrolled: 1-line block ×3, first 2 shown]
	v_mul_f64 v[178:179], v[70:71], s[8:9]
	v_mul_f64 v[182:183], v[70:71], s[20:21]
	v_fma_f64 v[210:211], s[20:21], v[116:117], v[160:161]
	v_add_f64 v[120:121], v[120:121], v[214:215]
	v_mul_f64 v[214:215], v[118:119], s[12:13]
	v_fma_f64 v[216:217], v[86:87], s[8:9], -v[108:109]
	v_fma_f64 v[116:117], v[116:117], s[20:21], -v[160:161]
	v_add_f64 v[68:69], v[110:111], v[68:69]
	v_fmac_f64_e32 v[108:109], s[8:9], v[86:87]
	v_add_f64 v[58:59], v[96:97], v[58:59]
	v_add_f64 v[70:71], v[94:95], -v[192:193]
	v_add_f64 v[56:57], v[66:67], v[56:57]
	v_add_f64 v[46:47], v[174:175], v[46:47]
	;; [unrolled: 1-line block ×4, first 2 shown]
	v_mul_f64 v[190:191], v[86:87], s[22:23]
	v_mul_f64 v[122:123], v[122:123], s[24:25]
	v_fma_f64 v[118:119], v[100:101], s[2:3], -v[214:215]
	v_add_f64 v[220:221], v[244:245], v[220:221]
	v_add_f64 v[84:85], v[116:117], v[68:69]
	v_fmac_f64_e32 v[214:215], s[2:3], v[100:101]
	v_add_f64 v[58:59], v[108:109], v[58:59]
	v_add_f64 v[68:69], v[78:79], -v[200:201]
	v_add_f64 v[56:57], v[70:71], v[56:57]
	v_add_f64 v[60:61], v[182:183], v[60:61]
	v_add_f64 v[46:47], v[244:245], v[46:47]
	v_add_f64 v[42:43], v[42:43], -v[172:173]
	v_add_f64 v[6:7], v[6:7], v[18:19]
	v_add_f64 v[4:5], v[4:5], v[16:17]
	v_mul_f64 v[198:199], v[100:101], s[14:15]
	v_add_f64 v[120:121], v[210:211], v[120:121]
	v_fma_f64 v[210:211], v[112:113], s[20:21], -v[122:123]
	v_add_f64 v[218:219], v[218:219], v[220:221]
	v_fmac_f64_e32 v[122:123], s[20:21], v[112:113]
	v_add_f64 v[58:59], v[214:215], v[58:59]
	v_add_f64 v[56:57], v[68:69], v[56:57]
	;; [unrolled: 1-line block ×4, first 2 shown]
	v_add_f64 v[48:49], v[48:49], -v[180:181]
	v_add_f64 v[42:43], v[246:247], v[42:43]
	v_add_f64 v[40:41], v[170:171], v[40:41]
	;; [unrolled: 1-line block ×4, first 2 shown]
	v_mul_f64 v[186:187], v[86:87], s[14:15]
	v_mul_f64 v[206:207], v[112:113], s[2:3]
	v_add_f64 v[216:217], v[216:217], v[218:219]
	v_add_f64 v[82:83], v[122:123], v[58:59]
	v_add_f64 v[58:59], v[106:107], -v[208:209]
	v_add_f64 v[66:67], v[198:199], v[88:89]
	v_add_f64 v[46:47], v[68:69], v[46:47]
	v_add_f64 v[62:63], v[62:63], -v[188:189]
	v_add_f64 v[42:43], v[48:49], v[42:43]
	v_add_f64 v[44:45], v[178:179], v[44:45]
	;; [unrolled: 1-line block ×5, first 2 shown]
	v_mul_f64 v[194:195], v[100:101], s[20:21]
	v_add_f64 v[118:119], v[118:119], v[216:217]
	v_add_f64 v[58:59], v[58:59], v[56:57]
	;; [unrolled: 1-line block ×4, first 2 shown]
	v_add_f64 v[60:61], v[74:75], -v[196:197]
	v_add_f64 v[42:43], v[62:63], v[42:43]
	v_add_f64 v[50:51], v[186:187], v[50:51]
	;; [unrolled: 1-line block ×5, first 2 shown]
	v_accvgpr_write_b32 a131, v202
	v_mul_f64 v[202:203], v[112:113], s[22:23]
	v_accvgpr_read_b32 v235, a11
	v_accvgpr_read_b32 v231, a7
	v_add_f64 v[118:119], v[210:211], v[118:119]
	v_accvgpr_read_b32 v213, a163
	v_add_f64 v[56:57], v[56:57], v[46:47]
	v_add_f64 v[46:47], v[90:91], -v[204:205]
	v_accvgpr_read_b32 v207, a159
	v_add_f64 v[42:43], v[60:61], v[42:43]
	v_add_f64 v[48:49], v[194:195], v[64:65]
	;; [unrolled: 1-line block ×5, first 2 shown]
	v_accvgpr_read_b32 v234, a10
	v_accvgpr_read_b32 v233, a9
	;; [unrolled: 1-line block ×19, first 2 shown]
	v_add_f64 v[42:43], v[46:47], v[42:43]
	v_add_f64 v[46:47], v[202:203], v[80:81]
	v_accvgpr_read_b32 v202, a131
	v_add_f64 v[40:41], v[48:49], v[40:41]
	v_add_f64 v[2:3], v[2:3], v[226:227]
	;; [unrolled: 1-line block ×3, first 2 shown]
	v_lshlrev_b32_e32 v4, 4, v93
	v_add_f64 v[40:41], v[46:47], v[40:41]
	ds_write_b128 v4, v[0:3]
	ds_write_b128 v4, v[40:43] offset:16
	ds_write_b128 v4, v[56:59] offset:32
	;; [unrolled: 1-line block ×10, first 2 shown]
.LBB0_17:
	s_or_b64 exec, exec, s[38:39]
	s_waitcnt lgkmcnt(0)
	; wave barrier
	s_waitcnt lgkmcnt(0)
	ds_read_b128 v[12:15], v92
	ds_read_b128 v[8:11], v92 offset:880
	ds_read_b128 v[248:251], v92 offset:3696
	;; [unrolled: 1-line block ×19, first 2 shown]
	s_and_saveexec_b64 s[2:3], s[0:1]
	s_cbranch_execz .LBB0_19
; %bb.18:
	ds_read_b128 v[28:31], v92 offset:3520
	ds_read_b128 v[32:35], v92 offset:7216
	;; [unrolled: 1-line block ×5, first 2 shown]
.LBB0_19:
	s_or_b64 exec, exec, s[2:3]
	v_accvgpr_read_b32 v78, a84
	v_accvgpr_read_b32 v80, a86
	;; [unrolled: 1-line block ×4, first 2 shown]
	s_waitcnt lgkmcnt(14)
	v_mul_f64 v[96:97], v[80:81], v[250:251]
	v_mul_f64 v[76:77], v[80:81], v[248:249]
	v_fmac_f64_e32 v[96:97], v[78:79], v[248:249]
	v_fma_f64 v[98:99], v[78:79], v[250:251], -v[76:77]
	v_accvgpr_read_b32 v78, a80
	v_accvgpr_read_b32 v80, a82
	v_accvgpr_read_b32 v81, a83
	v_accvgpr_read_b32 v79, a81
	v_mul_f64 v[100:101], v[80:81], v[246:247]
	v_mul_f64 v[76:77], v[80:81], v[244:245]
	v_fmac_f64_e32 v[100:101], v[78:79], v[244:245]
	v_fma_f64 v[102:103], v[78:79], v[246:247], -v[76:77]
	v_accvgpr_read_b32 v81, a75
	v_accvgpr_read_b32 v80, a74
	;; [unrolled: 1-line block ×4, first 2 shown]
	s_waitcnt lgkmcnt(13)
	v_mul_f64 v[104:105], v[80:81], v[226:227]
	v_mul_f64 v[76:77], v[80:81], v[224:225]
	v_fmac_f64_e32 v[104:105], v[78:79], v[224:225]
	v_fma_f64 v[106:107], v[78:79], v[226:227], -v[76:77]
	v_accvgpr_read_b32 v79, a67
	v_accvgpr_read_b32 v78, a66
	;; [unrolled: 1-line block ×4, first 2 shown]
	s_waitcnt lgkmcnt(11)
	v_mul_f64 v[108:109], v[78:79], v[74:75]
	v_fmac_f64_e32 v[108:109], v[76:77], v[72:73]
	v_mul_f64 v[72:73], v[78:79], v[72:73]
	v_fma_f64 v[110:111], v[76:77], v[74:75], -v[72:73]
	v_accvgpr_read_b32 v72, a76
	v_accvgpr_read_b32 v74, a78
	v_accvgpr_read_b32 v75, a79
	v_accvgpr_read_b32 v73, a77
	v_mul_f64 v[112:113], v[74:75], v[70:71]
	v_fmac_f64_e32 v[112:113], v[72:73], v[68:69]
	v_mul_f64 v[68:69], v[74:75], v[68:69]
	v_fma_f64 v[94:95], v[72:73], v[70:71], -v[68:69]
	v_accvgpr_read_b32 v68, a68
	v_accvgpr_read_b32 v70, a70
	v_accvgpr_read_b32 v71, a71
	v_accvgpr_read_b32 v69, a69
	;; [unrolled: 8-line block ×4, first 2 shown]
	s_waitcnt lgkmcnt(10)
	v_mul_f64 v[122:123], v[62:63], v[54:55]
	v_fmac_f64_e32 v[122:123], v[60:61], v[52:53]
	v_mul_f64 v[52:53], v[62:63], v[52:53]
	v_fma_f64 v[160:161], v[60:61], v[54:55], -v[52:53]
	v_accvgpr_read_b32 v60, a100
	v_accvgpr_read_b32 v62, a102
	;; [unrolled: 1-line block ×4, first 2 shown]
	s_waitcnt lgkmcnt(7)
	v_mul_f64 v[52:53], v[62:63], v[56:57]
	v_fma_f64 v[76:77], v[60:61], v[58:59], -v[52:53]
	v_accvgpr_read_b32 v52, a92
	v_accvgpr_read_b32 v54, a94
	v_accvgpr_read_b32 v55, a95
	v_accvgpr_read_b32 v53, a93
	s_waitcnt lgkmcnt(5)
	v_mul_f64 v[86:87], v[54:55], v[50:51]
	v_fmac_f64_e32 v[86:87], v[52:53], v[48:49]
	v_mul_f64 v[48:49], v[54:55], v[48:49]
	v_fma_f64 v[78:79], v[52:53], v[50:51], -v[48:49]
	v_accvgpr_read_b32 v48, a108
	v_accvgpr_read_b32 v50, a110
	v_accvgpr_read_b32 v51, a111
	v_accvgpr_read_b32 v49, a109
	s_waitcnt lgkmcnt(3)
	v_mul_f64 v[88:89], v[50:51], v[46:47]
	v_fmac_f64_e32 v[88:89], v[48:49], v[44:45]
	;; [unrolled: 9-line block ×3, first 2 shown]
	v_mul_f64 v[40:41], v[46:47], v[40:41]
	v_fma_f64 v[82:83], v[44:45], v[42:43], -v[40:41]
	v_accvgpr_read_b32 v40, a116
	v_accvgpr_read_b32 v42, a118
	;; [unrolled: 1-line block ×4, first 2 shown]
	v_mul_f64 v[68:69], v[42:43], v[38:39]
	v_mul_f64 v[84:85], v[62:63], v[58:59]
	v_fmac_f64_e32 v[68:69], v[40:41], v[36:37]
	v_mul_f64 v[36:37], v[42:43], v[36:37]
	v_fmac_f64_e32 v[84:85], v[60:61], v[56:57]
	v_fma_f64 v[60:61], v[40:41], v[38:39], -v[36:37]
	v_accvgpr_read_b32 v36, a112
	v_accvgpr_read_b32 v38, a114
	;; [unrolled: 1-line block ×4, first 2 shown]
	v_mul_f64 v[70:71], v[38:39], v[26:27]
	v_fmac_f64_e32 v[70:71], v[36:37], v[24:25]
	v_mul_f64 v[24:25], v[38:39], v[24:25]
	v_fma_f64 v[62:63], v[36:37], v[26:27], -v[24:25]
	v_accvgpr_read_b32 v24, a124
	v_accvgpr_read_b32 v26, a126
	;; [unrolled: 1-line block ×4, first 2 shown]
	v_mul_f64 v[72:73], v[26:27], v[22:23]
	v_fmac_f64_e32 v[72:73], v[24:25], v[20:21]
	v_mul_f64 v[20:21], v[26:27], v[20:21]
	v_fma_f64 v[64:65], v[24:25], v[22:23], -v[20:21]
	v_accvgpr_read_b32 v20, a120
	v_accvgpr_read_b32 v22, a122
	;; [unrolled: 1-line block ×4, first 2 shown]
	s_waitcnt lgkmcnt(0)
	v_mul_f64 v[74:75], v[22:23], v[18:19]
	v_fmac_f64_e32 v[74:75], v[20:21], v[16:17]
	v_mul_f64 v[16:17], v[22:23], v[16:17]
	v_fma_f64 v[66:67], v[20:21], v[18:19], -v[16:17]
	v_add_f64 v[16:17], v[12:13], v[96:97]
	v_add_f64 v[16:17], v[16:17], v[100:101]
	;; [unrolled: 1-line block ×5, first 2 shown]
	s_mov_b32 s2, 0x134454ff
	v_fma_f64 v[16:17], -0.5, v[16:17], v[12:13]
	v_add_f64 v[18:19], v[98:99], -v[110:111]
	s_mov_b32 s3, 0xbfee6f0e
	s_mov_b32 s8, 0x4755a5e
	;; [unrolled: 1-line block ×4, first 2 shown]
	v_fma_f64 v[24:25], s[2:3], v[18:19], v[16:17]
	v_add_f64 v[22:23], v[102:103], -v[106:107]
	s_mov_b32 s9, 0xbfe2cf23
	v_add_f64 v[26:27], v[96:97], -v[100:101]
	v_add_f64 v[36:37], v[108:109], -v[104:105]
	s_mov_b32 s12, 0x372fe950
	v_fmac_f64_e32 v[16:17], s[14:15], v[18:19]
	s_mov_b32 s17, 0x3fe2cf23
	s_mov_b32 s16, s8
	v_fmac_f64_e32 v[24:25], s[8:9], v[22:23]
	v_add_f64 v[26:27], v[26:27], v[36:37]
	s_mov_b32 s13, 0x3fd3c6ef
	v_fmac_f64_e32 v[16:17], s[16:17], v[22:23]
	v_fmac_f64_e32 v[24:25], s[12:13], v[26:27]
	;; [unrolled: 1-line block ×3, first 2 shown]
	v_add_f64 v[26:27], v[96:97], v[108:109]
	v_fmac_f64_e32 v[12:13], -0.5, v[26:27]
	v_fma_f64 v[36:37], s[14:15], v[22:23], v[12:13]
	v_fmac_f64_e32 v[12:13], s[2:3], v[22:23]
	v_fmac_f64_e32 v[36:37], s[8:9], v[18:19]
	;; [unrolled: 1-line block ×3, first 2 shown]
	v_add_f64 v[18:19], v[14:15], v[98:99]
	v_add_f64 v[18:19], v[18:19], v[102:103]
	;; [unrolled: 1-line block ×3, first 2 shown]
	v_add_f64 v[26:27], v[100:101], -v[96:97]
	v_add_f64 v[38:39], v[104:105], -v[108:109]
	v_add_f64 v[22:23], v[18:19], v[110:111]
	v_add_f64 v[18:19], v[102:103], v[106:107]
	;; [unrolled: 1-line block ×3, first 2 shown]
	v_fma_f64 v[18:19], -0.5, v[18:19], v[14:15]
	v_add_f64 v[40:41], v[96:97], -v[108:109]
	v_fmac_f64_e32 v[36:37], s[12:13], v[26:27]
	v_fmac_f64_e32 v[12:13], s[12:13], v[26:27]
	v_fma_f64 v[26:27], s[14:15], v[40:41], v[18:19]
	v_add_f64 v[42:43], v[100:101], -v[104:105]
	v_add_f64 v[38:39], v[98:99], -v[102:103]
	;; [unrolled: 1-line block ×3, first 2 shown]
	v_fmac_f64_e32 v[18:19], s[2:3], v[40:41]
	v_fmac_f64_e32 v[26:27], s[16:17], v[42:43]
	v_add_f64 v[38:39], v[38:39], v[44:45]
	v_fmac_f64_e32 v[18:19], s[8:9], v[42:43]
	v_fmac_f64_e32 v[26:27], s[12:13], v[38:39]
	;; [unrolled: 1-line block ×3, first 2 shown]
	v_add_f64 v[38:39], v[98:99], v[110:111]
	v_fmac_f64_e32 v[14:15], -0.5, v[38:39]
	v_fma_f64 v[38:39], s[2:3], v[42:43], v[14:15]
	v_fmac_f64_e32 v[14:15], s[14:15], v[42:43]
	v_fmac_f64_e32 v[38:39], s[16:17], v[40:41]
	;; [unrolled: 1-line block ×3, first 2 shown]
	v_add_f64 v[40:41], v[8:9], v[112:113]
	v_add_f64 v[44:45], v[102:103], -v[98:99]
	v_add_f64 v[46:47], v[106:107], -v[110:111]
	v_add_f64 v[40:41], v[40:41], v[114:115]
	v_add_f64 v[44:45], v[44:45], v[46:47]
	;; [unrolled: 1-line block ×3, first 2 shown]
	v_fmac_f64_e32 v[38:39], s[12:13], v[44:45]
	v_fmac_f64_e32 v[14:15], s[12:13], v[44:45]
	v_add_f64 v[44:45], v[40:41], v[122:123]
	v_add_f64 v[40:41], v[114:115], v[118:119]
	v_fma_f64 v[40:41], -0.5, v[40:41], v[8:9]
	v_add_f64 v[42:43], v[94:95], -v[160:161]
	v_fma_f64 v[48:49], s[2:3], v[42:43], v[40:41]
	v_add_f64 v[46:47], v[116:117], -v[120:121]
	v_add_f64 v[50:51], v[112:113], -v[114:115]
	;; [unrolled: 1-line block ×3, first 2 shown]
	v_fmac_f64_e32 v[40:41], s[14:15], v[42:43]
	v_fmac_f64_e32 v[48:49], s[8:9], v[46:47]
	v_add_f64 v[50:51], v[50:51], v[52:53]
	v_fmac_f64_e32 v[40:41], s[16:17], v[46:47]
	v_fmac_f64_e32 v[48:49], s[12:13], v[50:51]
	;; [unrolled: 1-line block ×3, first 2 shown]
	v_add_f64 v[50:51], v[112:113], v[122:123]
	v_fmac_f64_e32 v[8:9], -0.5, v[50:51]
	v_fma_f64 v[52:53], s[14:15], v[46:47], v[8:9]
	v_fmac_f64_e32 v[8:9], s[2:3], v[46:47]
	v_fmac_f64_e32 v[52:53], s[8:9], v[42:43]
	;; [unrolled: 1-line block ×3, first 2 shown]
	v_add_f64 v[42:43], v[10:11], v[94:95]
	v_add_f64 v[42:43], v[42:43], v[116:117]
	v_add_f64 v[42:43], v[42:43], v[120:121]
	v_add_f64 v[50:51], v[114:115], -v[112:113]
	v_add_f64 v[54:55], v[118:119], -v[122:123]
	v_add_f64 v[46:47], v[42:43], v[160:161]
	v_add_f64 v[42:43], v[116:117], v[120:121]
	;; [unrolled: 1-line block ×3, first 2 shown]
	v_fma_f64 v[42:43], -0.5, v[42:43], v[10:11]
	v_add_f64 v[56:57], v[112:113], -v[122:123]
	v_fmac_f64_e32 v[52:53], s[12:13], v[50:51]
	v_fmac_f64_e32 v[8:9], s[12:13], v[50:51]
	v_fma_f64 v[50:51], s[14:15], v[56:57], v[42:43]
	v_add_f64 v[58:59], v[114:115], -v[118:119]
	v_add_f64 v[54:55], v[94:95], -v[116:117]
	;; [unrolled: 1-line block ×3, first 2 shown]
	v_fmac_f64_e32 v[42:43], s[2:3], v[56:57]
	v_fmac_f64_e32 v[50:51], s[16:17], v[58:59]
	v_add_f64 v[54:55], v[54:55], v[96:97]
	v_fmac_f64_e32 v[42:43], s[8:9], v[58:59]
	v_fmac_f64_e32 v[50:51], s[12:13], v[54:55]
	;; [unrolled: 1-line block ×3, first 2 shown]
	v_add_f64 v[54:55], v[94:95], v[160:161]
	v_fmac_f64_e32 v[10:11], -0.5, v[54:55]
	v_fma_f64 v[54:55], s[2:3], v[58:59], v[10:11]
	v_fmac_f64_e32 v[10:11], s[14:15], v[58:59]
	v_fmac_f64_e32 v[54:55], s[16:17], v[56:57]
	;; [unrolled: 1-line block ×3, first 2 shown]
	v_add_f64 v[56:57], v[4:5], v[84:85]
	v_add_f64 v[94:95], v[116:117], -v[94:95]
	v_add_f64 v[96:97], v[120:121], -v[160:161]
	v_add_f64 v[56:57], v[56:57], v[86:87]
	v_add_f64 v[94:95], v[94:95], v[96:97]
	;; [unrolled: 1-line block ×3, first 2 shown]
	v_fmac_f64_e32 v[54:55], s[12:13], v[94:95]
	v_fmac_f64_e32 v[10:11], s[12:13], v[94:95]
	v_add_f64 v[94:95], v[56:57], v[90:91]
	v_add_f64 v[56:57], v[86:87], v[88:89]
	v_fma_f64 v[56:57], -0.5, v[56:57], v[4:5]
	v_add_f64 v[58:59], v[76:77], -v[82:83]
	v_fma_f64 v[98:99], s[2:3], v[58:59], v[56:57]
	v_add_f64 v[96:97], v[78:79], -v[80:81]
	v_add_f64 v[100:101], v[84:85], -v[86:87]
	;; [unrolled: 1-line block ×3, first 2 shown]
	v_fmac_f64_e32 v[56:57], s[14:15], v[58:59]
	v_fmac_f64_e32 v[98:99], s[8:9], v[96:97]
	v_add_f64 v[100:101], v[100:101], v[102:103]
	v_fmac_f64_e32 v[56:57], s[16:17], v[96:97]
	v_fmac_f64_e32 v[98:99], s[12:13], v[100:101]
	;; [unrolled: 1-line block ×3, first 2 shown]
	v_add_f64 v[100:101], v[84:85], v[90:91]
	v_fmac_f64_e32 v[4:5], -0.5, v[100:101]
	v_fma_f64 v[102:103], s[14:15], v[96:97], v[4:5]
	v_fmac_f64_e32 v[4:5], s[2:3], v[96:97]
	v_fmac_f64_e32 v[102:103], s[8:9], v[58:59]
	;; [unrolled: 1-line block ×3, first 2 shown]
	v_add_f64 v[58:59], v[6:7], v[76:77]
	v_add_f64 v[58:59], v[58:59], v[78:79]
	;; [unrolled: 1-line block ×3, first 2 shown]
	v_add_f64 v[100:101], v[86:87], -v[84:85]
	v_add_f64 v[104:105], v[88:89], -v[90:91]
	v_add_f64 v[96:97], v[58:59], v[82:83]
	v_add_f64 v[58:59], v[78:79], v[80:81]
	;; [unrolled: 1-line block ×3, first 2 shown]
	v_fma_f64 v[58:59], -0.5, v[58:59], v[6:7]
	v_add_f64 v[84:85], v[84:85], -v[90:91]
	v_fmac_f64_e32 v[102:103], s[12:13], v[100:101]
	v_fmac_f64_e32 v[4:5], s[12:13], v[100:101]
	v_fma_f64 v[100:101], s[14:15], v[84:85], v[58:59]
	v_add_f64 v[86:87], v[86:87], -v[88:89]
	v_add_f64 v[88:89], v[76:77], -v[78:79]
	;; [unrolled: 1-line block ×3, first 2 shown]
	v_fmac_f64_e32 v[58:59], s[2:3], v[84:85]
	v_fmac_f64_e32 v[100:101], s[16:17], v[86:87]
	v_add_f64 v[88:89], v[88:89], v[90:91]
	v_fmac_f64_e32 v[58:59], s[8:9], v[86:87]
	v_fmac_f64_e32 v[100:101], s[12:13], v[88:89]
	;; [unrolled: 1-line block ×3, first 2 shown]
	v_add_f64 v[88:89], v[76:77], v[82:83]
	v_add_f64 v[76:77], v[78:79], -v[76:77]
	v_add_f64 v[78:79], v[80:81], -v[82:83]
	v_fmac_f64_e32 v[6:7], -0.5, v[88:89]
	v_add_f64 v[76:77], v[76:77], v[78:79]
	v_add_f64 v[78:79], v[70:71], v[72:73]
	v_fma_f64 v[104:105], s[2:3], v[86:87], v[6:7]
	v_fmac_f64_e32 v[6:7], s[14:15], v[86:87]
	v_fma_f64 v[80:81], -0.5, v[78:79], v[0:1]
	v_add_f64 v[78:79], v[60:61], -v[66:67]
	v_fmac_f64_e32 v[104:105], s[16:17], v[84:85]
	v_fmac_f64_e32 v[6:7], s[8:9], v[84:85]
	v_fma_f64 v[84:85], s[2:3], v[78:79], v[80:81]
	v_add_f64 v[82:83], v[62:63], -v[64:65]
	v_add_f64 v[86:87], v[68:69], -v[70:71]
	;; [unrolled: 1-line block ×3, first 2 shown]
	v_fmac_f64_e32 v[80:81], s[14:15], v[78:79]
	v_fmac_f64_e32 v[84:85], s[8:9], v[82:83]
	v_add_f64 v[86:87], v[86:87], v[88:89]
	v_fmac_f64_e32 v[80:81], s[16:17], v[82:83]
	v_fmac_f64_e32 v[84:85], s[12:13], v[86:87]
	;; [unrolled: 1-line block ×3, first 2 shown]
	v_add_f64 v[86:87], v[68:69], v[74:75]
	v_fmac_f64_e32 v[104:105], s[12:13], v[76:77]
	v_fmac_f64_e32 v[6:7], s[12:13], v[76:77]
	v_add_f64 v[76:77], v[0:1], v[68:69]
	v_fmac_f64_e32 v[0:1], -0.5, v[86:87]
	v_add_f64 v[76:77], v[76:77], v[70:71]
	v_fma_f64 v[88:89], s[14:15], v[82:83], v[0:1]
	v_add_f64 v[86:87], v[70:71], -v[68:69]
	v_add_f64 v[90:91], v[72:73], -v[74:75]
	v_fmac_f64_e32 v[0:1], s[2:3], v[82:83]
	v_add_f64 v[82:83], v[62:63], v[64:65]
	v_add_f64 v[76:77], v[76:77], v[72:73]
	v_fmac_f64_e32 v[88:89], s[8:9], v[78:79]
	v_add_f64 v[86:87], v[86:87], v[90:91]
	v_fmac_f64_e32 v[0:1], s[16:17], v[78:79]
	v_fma_f64 v[82:83], -0.5, v[82:83], v[2:3]
	v_add_f64 v[68:69], v[68:69], -v[74:75]
	v_add_f64 v[76:77], v[76:77], v[74:75]
	v_fmac_f64_e32 v[88:89], s[12:13], v[86:87]
	v_fmac_f64_e32 v[0:1], s[12:13], v[86:87]
	v_fma_f64 v[86:87], s[14:15], v[68:69], v[82:83]
	v_add_f64 v[70:71], v[70:71], -v[72:73]
	v_add_f64 v[72:73], v[60:61], -v[62:63]
	;; [unrolled: 1-line block ×3, first 2 shown]
	v_fmac_f64_e32 v[82:83], s[2:3], v[68:69]
	v_fmac_f64_e32 v[86:87], s[16:17], v[70:71]
	v_add_f64 v[72:73], v[72:73], v[74:75]
	v_fmac_f64_e32 v[82:83], s[8:9], v[70:71]
	v_fmac_f64_e32 v[86:87], s[12:13], v[72:73]
	;; [unrolled: 1-line block ×3, first 2 shown]
	v_add_f64 v[72:73], v[60:61], v[66:67]
	v_add_f64 v[78:79], v[2:3], v[60:61]
	v_fmac_f64_e32 v[2:3], -0.5, v[72:73]
	v_add_f64 v[78:79], v[78:79], v[62:63]
	v_fma_f64 v[90:91], s[2:3], v[70:71], v[2:3]
	v_add_f64 v[60:61], v[62:63], -v[60:61]
	v_add_f64 v[62:63], v[64:65], -v[66:67]
	v_fmac_f64_e32 v[2:3], s[14:15], v[70:71]
	v_add_f64 v[78:79], v[78:79], v[64:65]
	v_fmac_f64_e32 v[90:91], s[16:17], v[68:69]
	v_add_f64 v[60:61], v[60:61], v[62:63]
	;; [unrolled: 2-line block ×3, first 2 shown]
	v_fmac_f64_e32 v[90:91], s[12:13], v[60:61]
	v_fmac_f64_e32 v[2:3], s[12:13], v[60:61]
	s_waitcnt lgkmcnt(0)
	; wave barrier
	ds_write_b128 v215, v[20:23]
	ds_write_b128 v215, v[24:27] offset:176
	ds_write_b128 v215, v[36:39] offset:352
	ds_write_b128 v215, v[12:15] offset:528
	ds_write_b128 v215, v[16:19] offset:704
	ds_write_b128 v219, v[44:47]
	ds_write_b128 v219, v[48:51] offset:176
	ds_write_b128 v219, v[52:55] offset:352
	ds_write_b128 v219, v[8:11] offset:528
	ds_write_b128 v219, v[40:43] offset:704
	;; [unrolled: 5-line block ×4, first 2 shown]
	s_and_saveexec_b64 s[18:19], s[0:1]
	s_cbranch_execz .LBB0_21
; %bb.20:
	v_accvgpr_read_b32 v14, a60
	v_accvgpr_read_b32 v18, a56
	;; [unrolled: 1-line block ×9, first 2 shown]
	v_mul_f64 v[0:1], v[16:17], v[128:129]
	v_accvgpr_read_b32 v26, a54
	v_accvgpr_read_b32 v27, a55
	;; [unrolled: 1-line block ×3, first 2 shown]
	v_mul_f64 v[6:7], v[20:21], v[132:133]
	v_accvgpr_read_b32 v38, a50
	v_accvgpr_read_b32 v39, a51
	v_fma_f64 v[4:5], v[14:15], v[130:131], -v[0:1]
	v_accvgpr_read_b32 v25, a53
	v_mul_f64 v[0:1], v[26:27], v[32:33]
	v_fma_f64 v[8:9], v[18:19], v[134:135], -v[6:7]
	v_accvgpr_read_b32 v37, a49
	v_mul_f64 v[6:7], v[38:39], v[124:125]
	v_fma_f64 v[0:1], v[24:25], v[34:35], -v[0:1]
	v_fma_f64 v[12:13], v[36:37], v[126:127], -v[6:7]
	v_add_f64 v[2:3], v[4:5], -v[0:1]
	v_add_f64 v[6:7], v[8:9], -v[12:13]
	v_mul_f64 v[16:17], v[16:17], v[130:131]
	v_mul_f64 v[20:21], v[20:21], v[134:135]
	;; [unrolled: 1-line block ×3, first 2 shown]
	v_add_f64 v[10:11], v[2:3], v[6:7]
	v_fmac_f64_e32 v[16:17], v[14:15], v[128:129]
	v_fmac_f64_e32 v[20:21], v[18:19], v[132:133]
	v_add_f64 v[2:3], v[0:1], v[12:13]
	v_fmac_f64_e32 v[22:23], v[24:25], v[32:33]
	v_mul_f64 v[24:25], v[38:39], v[126:127]
	v_add_f64 v[18:19], v[16:17], -v[20:21]
	v_fma_f64 v[2:3], -0.5, v[2:3], v[30:31]
	v_fmac_f64_e32 v[24:25], v[36:37], v[124:125]
	v_fma_f64 v[6:7], s[14:15], v[18:19], v[2:3]
	v_add_f64 v[26:27], v[22:23], -v[24:25]
	v_fmac_f64_e32 v[2:3], s[2:3], v[18:19]
	v_fmac_f64_e32 v[6:7], s[8:9], v[26:27]
	v_fmac_f64_e32 v[2:3], s[16:17], v[26:27]
	v_fmac_f64_e32 v[6:7], s[12:13], v[10:11]
	v_fmac_f64_e32 v[2:3], s[12:13], v[10:11]
	v_add_f64 v[10:11], v[0:1], -v[4:5]
	v_add_f64 v[14:15], v[12:13], -v[8:9]
	v_add_f64 v[32:33], v[10:11], v[14:15]
	v_add_f64 v[10:11], v[4:5], v[8:9]
	v_fma_f64 v[10:11], -0.5, v[10:11], v[30:31]
	v_fma_f64 v[14:15], s[2:3], v[26:27], v[10:11]
	v_fmac_f64_e32 v[10:11], s[14:15], v[26:27]
	v_fmac_f64_e32 v[14:15], s[8:9], v[18:19]
	;; [unrolled: 1-line block ×3, first 2 shown]
	v_add_f64 v[18:19], v[30:31], v[0:1]
	v_add_f64 v[26:27], v[16:17], -v[22:23]
	v_add_f64 v[30:31], v[20:21], -v[24:25]
	v_add_f64 v[26:27], v[26:27], v[30:31]
	v_add_f64 v[30:31], v[0:1], -v[12:13]
	v_add_f64 v[0:1], v[22:23], v[24:25]
	v_fmac_f64_e32 v[14:15], s[12:13], v[32:33]
	v_fmac_f64_e32 v[10:11], s[12:13], v[32:33]
	v_add_f64 v[18:19], v[18:19], v[4:5]
	v_fma_f64 v[0:1], -0.5, v[0:1], v[28:29]
	v_add_f64 v[32:33], v[4:5], -v[8:9]
	v_add_f64 v[18:19], v[18:19], v[8:9]
	v_fma_f64 v[4:5], s[2:3], v[32:33], v[0:1]
	v_fmac_f64_e32 v[0:1], s[14:15], v[32:33]
	v_add_f64 v[18:19], v[18:19], v[12:13]
	v_fmac_f64_e32 v[4:5], s[16:17], v[30:31]
	v_fmac_f64_e32 v[0:1], s[8:9], v[30:31]
	v_add_f64 v[8:9], v[22:23], -v[16:17]
	v_add_f64 v[12:13], v[24:25], -v[20:21]
	v_fmac_f64_e32 v[4:5], s[12:13], v[26:27]
	v_fmac_f64_e32 v[0:1], s[12:13], v[26:27]
	v_add_f64 v[26:27], v[8:9], v[12:13]
	v_add_f64 v[8:9], v[16:17], v[20:21]
	;; [unrolled: 1-line block ×3, first 2 shown]
	v_fma_f64 v[8:9], -0.5, v[8:9], v[28:29]
	v_add_f64 v[16:17], v[22:23], v[16:17]
	v_fma_f64 v[12:13], s[14:15], v[30:31], v[8:9]
	v_fmac_f64_e32 v[8:9], s[2:3], v[30:31]
	v_add_f64 v[16:17], v[16:17], v[20:21]
	v_fmac_f64_e32 v[12:13], s[16:17], v[32:33]
	v_fmac_f64_e32 v[8:9], s[8:9], v[32:33]
	v_add_f64 v[16:17], v[16:17], v[24:25]
	v_fmac_f64_e32 v[12:13], s[12:13], v[26:27]
	v_fmac_f64_e32 v[8:9], s[12:13], v[26:27]
	ds_write_b128 v214, v[16:19] offset:17600
	ds_write_b128 v214, v[8:11] offset:17776
	;; [unrolled: 1-line block ×5, first 2 shown]
.LBB0_21:
	s_or_b64 exec, exec, s[18:19]
	s_waitcnt lgkmcnt(0)
	; wave barrier
	s_waitcnt lgkmcnt(0)
	ds_read_b128 v[8:11], v92
	ds_read_b128 v[4:7], v92 offset:880
	ds_read_b128 v[12:15], v92 offset:5280
	;; [unrolled: 1-line block ×20, first 2 shown]
	s_waitcnt lgkmcnt(12)
	v_mul_f64 v[90:91], v[154:155], v[44:45]
	v_mul_f64 v[106:107], v[146:147], v[18:19]
	v_fmac_f64_e32 v[90:91], v[152:153], v[42:43]
	v_mul_f64 v[42:43], v[154:155], v[42:43]
	v_mul_f64 v[100:101], v[138:139], v[22:23]
	v_fmac_f64_e32 v[106:107], v[144:145], v[16:17]
	v_mul_f64 v[16:17], v[146:147], v[16:17]
	v_fma_f64 v[94:95], v[152:153], v[44:45], -v[42:43]
	s_waitcnt lgkmcnt(8)
	v_mul_f64 v[42:43], v[142:143], v[54:55]
	v_fmac_f64_e32 v[100:101], v[136:137], v[20:21]
	v_mul_f64 v[20:21], v[138:139], v[20:21]
	v_fma_f64 v[108:109], v[144:145], v[18:19], -v[16:17]
	s_waitcnt lgkmcnt(6)
	v_mul_f64 v[16:17], v[142:143], v[62:63]
	v_fma_f64 v[98:99], v[140:141], v[56:57], -v[42:43]
	v_fma_f64 v[20:21], v[136:137], v[22:23], -v[20:21]
	s_waitcnt lgkmcnt(4)
	v_mul_f64 v[22:23], v[158:159], v[72:73]
	v_mul_f64 v[42:43], v[158:159], v[70:71]
	v_fma_f64 v[112:113], v[140:141], v[64:65], -v[16:17]
	v_mul_f64 v[114:115], v[138:139], v[26:27]
	v_mul_f64 v[16:17], v[138:139], v[24:25]
	v_fmac_f64_e32 v[22:23], v[156:157], v[70:71]
	v_fma_f64 v[70:71], v[156:157], v[72:73], -v[42:43]
	v_mul_f64 v[72:73], v[150:151], v[30:31]
	v_fmac_f64_e32 v[114:115], v[136:137], v[24:25]
	v_fma_f64 v[116:117], v[136:137], v[26:27], -v[16:17]
	s_waitcnt lgkmcnt(2)
	v_mul_f64 v[118:119], v[158:159], v[80:81]
	v_mul_f64 v[16:17], v[158:159], v[78:79]
	v_accvgpr_read_b32 v24, a144
	v_fmac_f64_e32 v[72:73], v[148:149], v[28:29]
	v_mul_f64 v[28:29], v[150:151], v[28:29]
	v_fmac_f64_e32 v[118:119], v[156:157], v[78:79]
	v_fma_f64 v[78:79], v[156:157], v[80:81], -v[16:17]
	v_mul_f64 v[16:17], v[150:151], v[32:33]
	v_accvgpr_read_b32 v26, a146
	v_accvgpr_read_b32 v27, a147
	v_fma_f64 v[28:29], v[148:149], v[30:31], -v[28:29]
	v_mul_f64 v[30:31], v[154:155], v[46:47]
	v_fma_f64 v[120:121], v[148:149], v[34:35], -v[16:17]
	v_accvgpr_read_b32 v25, a145
	v_mul_f64 v[42:43], v[26:27], v[52:53]
	v_mul_f64 v[16:17], v[26:27], v[50:51]
	;; [unrolled: 1-line block ×3, first 2 shown]
	v_fma_f64 v[104:105], v[152:153], v[48:49], -v[30:31]
	v_fmac_f64_e32 v[42:43], v[24:25], v[50:51]
	v_fma_f64 v[48:49], v[24:25], v[52:53], -v[16:17]
	v_accvgpr_read_b32 v24, a140
	v_accvgpr_read_b32 v26, a142
	;; [unrolled: 1-line block ×4, first 2 shown]
	v_mul_f64 v[44:45], v[26:27], v[60:61]
	v_mul_f64 v[16:17], v[26:27], v[58:59]
	v_fmac_f64_e32 v[44:45], v[24:25], v[58:59]
	v_fma_f64 v[50:51], v[24:25], v[60:61], -v[16:17]
	v_accvgpr_read_b32 v24, a136
	v_accvgpr_read_b32 v26, a138
	;; [unrolled: 1-line block ×3, first 2 shown]
	v_mul_f64 v[96:97], v[146:147], v[14:15]
	v_fmac_f64_e32 v[102:103], v[152:153], v[46:47]
	v_accvgpr_read_b32 v25, a137
	v_mul_f64 v[46:47], v[26:27], v[68:69]
	v_mul_f64 v[16:17], v[26:27], v[66:67]
	v_fmac_f64_e32 v[96:97], v[144:145], v[12:13]
	v_mul_f64 v[12:13], v[146:147], v[12:13]
	v_fmac_f64_e32 v[46:47], v[24:25], v[66:67]
	v_fma_f64 v[52:53], v[24:25], v[68:69], -v[16:17]
	v_accvgpr_read_b32 v24, a132
	v_fma_f64 v[12:13], v[144:145], v[14:15], -v[12:13]
	v_mul_f64 v[14:15], v[142:143], v[56:57]
	v_accvgpr_read_b32 v26, a134
	v_accvgpr_read_b32 v27, a135
	v_fmac_f64_e32 v[14:15], v[140:141], v[54:55]
	v_accvgpr_read_b32 v25, a133
	v_mul_f64 v[54:55], v[26:27], v[76:77]
	v_mul_f64 v[16:17], v[26:27], v[74:75]
	v_fmac_f64_e32 v[54:55], v[24:25], v[74:75]
	v_fma_f64 v[56:57], v[24:25], v[76:77], -v[16:17]
	v_accvgpr_read_b32 v24, a152
	v_accvgpr_read_b32 v26, a154
	;; [unrolled: 1-line block ×4, first 2 shown]
	s_waitcnt lgkmcnt(1)
	v_mul_f64 v[58:59], v[26:27], v[84:85]
	v_mul_f64 v[16:17], v[26:27], v[82:83]
	v_fmac_f64_e32 v[58:59], v[24:25], v[82:83]
	v_fma_f64 v[60:61], v[24:25], v[84:85], -v[16:17]
	v_accvgpr_read_b32 v24, a148
	v_accvgpr_read_b32 v26, a150
	;; [unrolled: 1-line block ×3, first 2 shown]
	v_mul_f64 v[110:111], v[142:143], v[64:65]
	v_accvgpr_read_b32 v25, a149
	s_waitcnt lgkmcnt(0)
	v_mul_f64 v[16:17], v[26:27], v[86:87]
	v_fmac_f64_e32 v[110:111], v[140:141], v[62:63]
	v_mul_f64 v[80:81], v[150:151], v[34:35]
	v_mul_f64 v[62:63], v[26:27], v[88:89]
	v_fma_f64 v[64:65], v[24:25], v[88:89], -v[16:17]
	v_add_f64 v[16:17], v[90:91], v[72:73]
	v_add_f64 v[18:19], v[94:95], v[28:29]
	v_add_f64 v[26:27], v[94:95], -v[28:29]
	v_add_f64 v[28:29], v[96:97], v[22:23]
	v_fmac_f64_e32 v[80:81], v[148:149], v[32:33]
	v_add_f64 v[30:31], v[12:13], v[70:71]
	v_add_f64 v[32:33], v[14:15], v[100:101]
	;; [unrolled: 1-line block ×3, first 2 shown]
	v_mad_u64_u32 v[38:39], s[0:1], s6, v220, 0
	v_add_f64 v[12:13], v[12:13], -v[70:71]
	v_add_f64 v[34:35], v[98:99], v[20:21]
	v_add_f64 v[68:69], v[30:31], v[18:19]
	v_add_f64 v[70:71], v[28:29], -v[16:17]
	v_add_f64 v[16:17], v[16:17], -v[32:33]
	;; [unrolled: 1-line block ×3, first 2 shown]
	v_add_f64 v[32:33], v[32:33], v[66:67]
	v_mov_b32_e32 v36, s10
	v_mov_b32_e32 v37, s11
	v_fmac_f64_e32 v[62:63], v[24:25], v[86:87]
	v_add_f64 v[24:25], v[90:91], -v[72:73]
	v_add_f64 v[22:23], v[96:97], -v[22:23]
	;; [unrolled: 1-line block ×7, first 2 shown]
	v_add_f64 v[34:35], v[34:35], v[68:69]
	v_add_f64 v[8:9], v[8:9], v[32:33]
	s_mov_b32 s2, 0x37e14327
	s_mov_b32 s0, 0x36b3c0b5
	;; [unrolled: 1-line block ×4, first 2 shown]
	v_add_f64 v[74:75], v[14:15], v[22:23]
	v_add_f64 v[76:77], v[20:21], v[12:13]
	v_add_f64 v[82:83], v[14:15], -v[22:23]
	v_add_f64 v[84:85], v[20:21], -v[12:13]
	v_add_f64 v[10:11], v[10:11], v[34:35]
	s_mov_b32 s3, 0x3fe948f6
	s_mov_b32 s1, 0x3fac98ee
	;; [unrolled: 1-line block ×5, first 2 shown]
	v_mov_b64_e32 v[86:87], v[8:9]
	s_mov_b32 s14, 0x5476071b
	s_mov_b32 s18, 0xb247c609
	v_add_f64 v[14:15], v[24:25], -v[14:15]
	v_add_f64 v[20:21], v[26:27], -v[20:21]
	;; [unrolled: 1-line block ×4, first 2 shown]
	v_add_f64 v[24:25], v[74:75], v[24:25]
	v_add_f64 v[26:27], v[76:77], v[26:27]
	v_mul_f64 v[16:17], v[16:17], s[2:3]
	v_mul_f64 v[18:19], v[18:19], s[2:3]
	v_mul_f64 v[66:67], v[28:29], s[0:1]
	v_mul_f64 v[68:69], v[30:31], s[0:1]
	v_mul_f64 v[74:75], v[82:83], s[10:11]
	v_mul_f64 v[76:77], v[84:85], s[10:11]
	s_mov_b32 s9, 0xbfebfeb5
	v_fmac_f64_e32 v[86:87], s[12:13], v[32:33]
	v_mov_b64_e32 v[32:33], v[10:11]
	s_mov_b32 s15, 0x3fe77f67
	s_mov_b32 s17, 0xbfe77f67
	;; [unrolled: 1-line block ×5, first 2 shown]
	v_mul_f64 v[82:83], v[22:23], s[8:9]
	v_mul_f64 v[84:85], v[12:13], s[8:9]
	v_fmac_f64_e32 v[32:33], s[12:13], v[34:35]
	v_fma_f64 v[34:35], v[70:71], s[14:15], -v[66:67]
	v_fma_f64 v[66:67], v[72:73], s[14:15], -v[68:69]
	;; [unrolled: 1-line block ×3, first 2 shown]
	v_fmac_f64_e32 v[16:17], s[0:1], v[28:29]
	v_fma_f64 v[28:29], v[72:73], s[16:17], -v[18:19]
	v_fmac_f64_e32 v[18:19], s[0:1], v[30:31]
	v_fma_f64 v[30:31], v[22:23], s[8:9], -v[74:75]
	;; [unrolled: 2-line block ×3, first 2 shown]
	s_mov_b32 s23, 0x3fd5d0dc
	s_mov_b32 s22, s18
	;; [unrolled: 1-line block ×3, first 2 shown]
	v_fmac_f64_e32 v[76:77], s[18:19], v[20:21]
	v_fma_f64 v[72:73], v[14:15], s[22:23], -v[82:83]
	v_fma_f64 v[82:83], v[20:21], s[22:23], -v[84:85]
	v_add_f64 v[88:89], v[18:19], v[32:33]
	v_add_f64 v[34:35], v[34:35], v[86:87]
	;; [unrolled: 1-line block ×3, first 2 shown]
	v_fmac_f64_e32 v[74:75], s[20:21], v[24:25]
	v_fmac_f64_e32 v[30:31], s[20:21], v[24:25]
	;; [unrolled: 1-line block ×3, first 2 shown]
	v_add_f64 v[84:85], v[16:17], v[86:87]
	v_add_f64 v[68:69], v[68:69], v[86:87]
	;; [unrolled: 1-line block ×3, first 2 shown]
	v_fmac_f64_e32 v[76:77], s[20:21], v[26:27]
	v_fmac_f64_e32 v[72:73], s[20:21], v[24:25]
	;; [unrolled: 1-line block ×3, first 2 shown]
	v_add_f64 v[14:15], v[88:89], -v[74:75]
	v_add_f64 v[20:21], v[34:35], -v[70:71]
	v_add_f64 v[22:23], v[30:31], v[66:67]
	v_add_f64 v[24:25], v[70:71], v[34:35]
	v_add_f64 v[26:27], v[66:67], -v[30:31]
	v_add_f64 v[34:35], v[74:75], v[88:89]
	v_add_f64 v[66:67], v[102:103], v[80:81]
	;; [unrolled: 1-line block ×5, first 2 shown]
	v_add_f64 v[18:19], v[32:33], -v[72:73]
	v_add_f64 v[28:29], v[68:69], -v[82:83]
	v_add_f64 v[30:31], v[72:73], v[32:33]
	v_add_f64 v[32:33], v[84:85], -v[76:77]
	v_add_f64 v[68:69], v[104:105], v[120:121]
	v_add_f64 v[76:77], v[108:109], v[78:79]
	;; [unrolled: 1-line block ×6, first 2 shown]
	v_add_f64 v[96:97], v[74:75], -v[66:67]
	v_add_f64 v[66:67], v[66:67], -v[82:83]
	;; [unrolled: 1-line block ×3, first 2 shown]
	v_add_f64 v[82:83], v[82:83], v[90:91]
	v_add_f64 v[70:71], v[102:103], -v[80:81]
	v_add_f64 v[80:81], v[106:107], -v[118:119]
	;; [unrolled: 1-line block ×6, first 2 shown]
	v_add_f64 v[84:85], v[84:85], v[94:95]
	v_add_f64 v[4:5], v[4:5], v[82:83]
	v_add_f64 v[72:73], v[104:105], -v[120:121]
	v_add_f64 v[78:79], v[108:109], -v[78:79]
	v_add_f64 v[88:89], v[116:117], -v[112:113]
	v_add_f64 v[100:101], v[86:87], v[80:81]
	v_add_f64 v[104:105], v[86:87], -v[80:81]
	v_add_f64 v[6:7], v[6:7], v[84:85]
	v_mov_b64_e32 v[108:109], v[4:5]
	v_add_f64 v[102:103], v[88:89], v[78:79]
	v_add_f64 v[106:107], v[88:89], -v[78:79]
	v_add_f64 v[86:87], v[70:71], -v[86:87]
	v_add_f64 v[80:81], v[80:81], -v[70:71]
	v_add_f64 v[78:79], v[78:79], -v[72:73]
	v_add_f64 v[70:71], v[100:101], v[70:71]
	v_mul_f64 v[90:91], v[74:75], s[0:1]
	v_mul_f64 v[94:95], v[76:77], s[0:1]
	v_mul_f64 v[100:101], v[104:105], s[10:11]
	v_fmac_f64_e32 v[108:109], s[12:13], v[82:83]
	v_mov_b64_e32 v[82:83], v[6:7]
	v_add_f64 v[88:89], v[72:73], -v[88:89]
	v_add_f64 v[72:73], v[102:103], v[72:73]
	v_mul_f64 v[66:67], v[66:67], s[2:3]
	v_mul_f64 v[102:103], v[106:107], s[10:11]
	;; [unrolled: 1-line block ×4, first 2 shown]
	v_fmac_f64_e32 v[82:83], s[12:13], v[84:85]
	v_fma_f64 v[84:85], v[96:97], s[14:15], -v[90:91]
	v_fma_f64 v[90:91], v[98:99], s[14:15], -v[94:95]
	;; [unrolled: 1-line block ×3, first 2 shown]
	v_mul_f64 v[68:69], v[68:69], s[2:3]
	v_fma_f64 v[94:95], v[96:97], s[16:17], -v[66:67]
	v_fma_f64 v[78:79], v[78:79], s[8:9], -v[102:103]
	v_fmac_f64_e32 v[102:103], s[18:19], v[88:89]
	v_fma_f64 v[88:89], v[88:89], s[22:23], -v[106:107]
	v_add_f64 v[90:91], v[90:91], v[82:83]
	v_fmac_f64_e32 v[80:81], s[20:21], v[70:71]
	v_fmac_f64_e32 v[66:67], s[0:1], v[74:75]
	v_fma_f64 v[74:75], v[98:99], s[16:17], -v[68:69]
	v_fmac_f64_e32 v[68:69], s[0:1], v[76:77]
	v_fmac_f64_e32 v[100:101], s[18:19], v[86:87]
	v_fma_f64 v[86:87], v[86:87], s[22:23], -v[104:105]
	v_add_f64 v[94:95], v[94:95], v[108:109]
	v_fmac_f64_e32 v[88:89], s[20:21], v[72:73]
	v_add_f64 v[76:77], v[80:81], v[90:91]
	v_add_f64 v[80:81], v[90:91], -v[80:81]
	v_add_f64 v[90:91], v[42:43], v[62:63]
	v_add_f64 v[42:43], v[42:43], -v[62:63]
	v_add_f64 v[62:63], v[44:45], v[58:59]
	v_add_f64 v[98:99], v[68:69], v[82:83]
	;; [unrolled: 1-line block ×3, first 2 shown]
	v_fmac_f64_e32 v[100:101], s[20:21], v[70:71]
	v_fmac_f64_e32 v[86:87], s[20:21], v[70:71]
	v_add_f64 v[70:71], v[88:89], v[94:95]
	v_add_f64 v[82:83], v[94:95], -v[88:89]
	v_add_f64 v[94:95], v[48:49], v[64:65]
	v_add_f64 v[48:49], v[48:49], -v[64:65]
	v_add_f64 v[64:65], v[50:51], v[60:61]
	v_add_f64 v[44:45], v[44:45], -v[58:59]
	v_add_f64 v[58:59], v[46:47], v[54:55]
	v_add_f64 v[46:47], v[54:55], -v[46:47]
	v_add_f64 v[54:55], v[62:63], v[90:91]
	v_add_f64 v[50:51], v[50:51], -v[60:61]
	v_add_f64 v[60:61], v[52:53], v[56:57]
	v_add_f64 v[52:53], v[56:57], -v[52:53]
	v_add_f64 v[56:57], v[64:65], v[94:95]
	v_add_f64 v[54:55], v[58:59], v[54:55]
	;; [unrolled: 1-line block ×4, first 2 shown]
	v_fmac_f64_e32 v[102:103], s[20:21], v[72:73]
	v_fmac_f64_e32 v[78:79], s[20:21], v[72:73]
	v_add_f64 v[56:57], v[60:61], v[56:57]
	v_add_f64 v[0:1], v[0:1], v[54:55]
	;; [unrolled: 1-line block ×3, first 2 shown]
	v_add_f64 v[68:69], v[98:99], -v[100:101]
	v_add_f64 v[72:73], v[104:105], -v[86:87]
	;; [unrolled: 1-line block ×3, first 2 shown]
	v_add_f64 v[78:79], v[78:79], v[84:85]
	v_add_f64 v[84:85], v[86:87], v[104:105]
	v_add_f64 v[86:87], v[96:97], -v[102:103]
	v_add_f64 v[88:89], v[100:101], v[98:99]
	v_add_f64 v[96:97], v[62:63], -v[90:91]
	v_add_f64 v[98:99], v[64:65], -v[94:95]
	;; [unrolled: 1-line block ×6, first 2 shown]
	v_add_f64 v[100:101], v[46:47], v[44:45]
	v_add_f64 v[102:103], v[52:53], v[50:51]
	v_add_f64 v[104:105], v[46:47], -v[44:45]
	v_add_f64 v[106:107], v[52:53], -v[50:51]
	;; [unrolled: 1-line block ×4, first 2 shown]
	v_add_f64 v[2:3], v[2:3], v[56:57]
	v_mov_b64_e32 v[108:109], v[0:1]
	v_add_f64 v[46:47], v[42:43], -v[46:47]
	v_add_f64 v[52:53], v[48:49], -v[52:53]
	v_add_f64 v[42:43], v[100:101], v[42:43]
	v_add_f64 v[48:49], v[102:103], v[48:49]
	v_mul_f64 v[58:59], v[90:91], s[2:3]
	v_mul_f64 v[60:61], v[94:95], s[2:3]
	v_mul_f64 v[90:91], v[62:63], s[0:1]
	v_mul_f64 v[94:95], v[64:65], s[0:1]
	v_mul_f64 v[100:101], v[104:105], s[10:11]
	v_mul_f64 v[102:103], v[106:107], s[10:11]
	v_mul_f64 v[104:105], v[44:45], s[8:9]
	v_mul_f64 v[106:107], v[50:51], s[8:9]
	v_fmac_f64_e32 v[108:109], s[12:13], v[54:55]
	v_mov_b64_e32 v[54:55], v[2:3]
	v_fmac_f64_e32 v[54:55], s[12:13], v[56:57]
	v_fma_f64 v[56:57], s[0:1], v[62:63], v[58:59]
	v_fma_f64 v[62:63], v[96:97], s[14:15], -v[90:91]
	v_fma_f64 v[90:91], v[98:99], s[14:15], -v[94:95]
	;; [unrolled: 1-line block ×4, first 2 shown]
	v_fmac_f64_e32 v[60:61], s[0:1], v[64:65]
	v_fma_f64 v[64:65], s[18:19], v[46:47], v[100:101]
	v_fma_f64 v[96:97], v[44:45], s[8:9], -v[100:101]
	v_fma_f64 v[98:99], v[50:51], s[8:9], -v[102:103]
	v_fmac_f64_e32 v[102:103], s[18:19], v[52:53]
	v_fma_f64 v[100:101], v[46:47], s[22:23], -v[104:105]
	v_fma_f64 v[104:105], v[52:53], s[22:23], -v[106:107]
	v_add_f64 v[106:107], v[56:57], v[108:109]
	v_add_f64 v[110:111], v[60:61], v[54:55]
	;; [unrolled: 1-line block ×6, first 2 shown]
	v_fmac_f64_e32 v[64:65], s[20:21], v[42:43]
	v_fmac_f64_e32 v[102:103], s[20:21], v[48:49]
	;; [unrolled: 1-line block ×6, first 2 shown]
	v_add_f64 v[42:43], v[102:103], v[106:107]
	v_add_f64 v[44:45], v[110:111], -v[64:65]
	v_add_f64 v[46:47], v[104:105], v[58:59]
	v_add_f64 v[48:49], v[62:63], -v[100:101]
	v_add_f64 v[50:51], v[56:57], -v[98:99]
	v_add_f64 v[52:53], v[96:97], v[60:61]
	v_add_f64 v[54:55], v[98:99], v[56:57]
	v_add_f64 v[56:57], v[60:61], -v[96:97]
	v_add_f64 v[58:59], v[58:59], -v[104:105]
	v_add_f64 v[60:61], v[100:101], v[62:63]
	v_add_f64 v[62:63], v[106:107], -v[102:103]
	v_add_f64 v[64:65], v[64:65], v[110:111]
	s_waitcnt lgkmcnt(0)
	; wave barrier
	ds_write_b128 v92, v[8:11]
	ds_write_b128 v92, v[12:15] offset:880
	ds_write_b128 v92, v[16:19] offset:1760
	;; [unrolled: 1-line block ×20, first 2 shown]
	s_waitcnt lgkmcnt(0)
	; wave barrier
	s_waitcnt lgkmcnt(0)
	ds_read_b128 v[0:3], v92
	ds_read_b128 v[4:7], v92 offset:880
	ds_read_b128 v[28:31], v92 offset:12320
	ds_read_b128 v[32:35], v92 offset:13200
	ds_read_b128 v[42:45], v92 offset:7040
	ds_read_b128 v[46:49], v92 offset:7920
	ds_read_b128 v[8:11], v92 offset:1760
	ds_read_b128 v[12:15], v92 offset:2640
	ds_read_b128 v[50:53], v92 offset:14080
	ds_read_b128 v[54:57], v92 offset:14960
	ds_read_b128 v[58:61], v92 offset:8800
	ds_read_b128 v[62:65], v92 offset:9680
	ds_read_b128 v[16:19], v92 offset:3520
	ds_read_b128 v[20:23], v92 offset:4400
	ds_read_b128 v[66:69], v92 offset:15840
	ds_read_b128 v[70:73], v92 offset:16720
	ds_read_b128 v[74:77], v92 offset:6160
	ds_read_b128 v[24:27], v92 offset:5280
	ds_read_b128 v[78:81], v92 offset:10560
	ds_read_b128 v[82:85], v92 offset:11440
	ds_read_b128 v[86:89], v92 offset:17600
	s_waitcnt lgkmcnt(4)
	v_mul_f64 v[90:91], v[206:207], v[76:77]
	v_fmac_f64_e32 v[90:91], v[204:205], v[74:75]
	v_mul_f64 v[74:75], v[206:207], v[74:75]
	v_fma_f64 v[74:75], v[204:205], v[76:77], -v[74:75]
	v_mul_f64 v[76:77], v[212:213], v[30:31]
	v_accvgpr_read_b32 v98, a164
	v_fmac_f64_e32 v[76:77], v[210:211], v[28:29]
	v_mul_f64 v[28:29], v[212:213], v[28:29]
	v_accvgpr_read_b32 v100, a166
	v_accvgpr_read_b32 v101, a167
	v_fma_f64 v[94:95], v[210:211], v[30:31], -v[28:29]
	v_accvgpr_read_b32 v99, a165
	v_mul_f64 v[96:97], v[100:101], v[44:45]
	v_mul_f64 v[28:29], v[100:101], v[42:43]
	v_fmac_f64_e32 v[96:97], v[98:99], v[42:43]
	v_fma_f64 v[98:99], v[98:99], v[44:45], -v[28:29]
	v_accvgpr_read_b32 v42, a168
	v_accvgpr_read_b32 v44, a170
	;; [unrolled: 1-line block ×4, first 2 shown]
	v_mul_f64 v[100:101], v[44:45], v[34:35]
	v_fmac_f64_e32 v[100:101], v[42:43], v[32:33]
	v_mul_f64 v[28:29], v[44:45], v[32:33]
	v_accvgpr_read_b32 v30, a172
	v_accvgpr_read_b32 v32, a174
	;; [unrolled: 1-line block ×3, first 2 shown]
	v_fma_f64 v[102:103], v[42:43], v[34:35], -v[28:29]
	v_accvgpr_read_b32 v31, a173
	v_mul_f64 v[104:105], v[32:33], v[48:49]
	v_mul_f64 v[28:29], v[32:33], v[46:47]
	v_fmac_f64_e32 v[104:105], v[30:31], v[46:47]
	v_fma_f64 v[106:107], v[30:31], v[48:49], -v[28:29]
	v_accvgpr_read_b32 v30, a176
	v_accvgpr_read_b32 v32, a178
	v_accvgpr_read_b32 v33, a179
	v_accvgpr_read_b32 v31, a177
	v_mul_f64 v[108:109], v[32:33], v[52:53]
	v_mul_f64 v[28:29], v[32:33], v[50:51]
	v_fmac_f64_e32 v[108:109], v[30:31], v[50:51]
	v_fma_f64 v[110:111], v[30:31], v[52:53], -v[28:29]
	v_accvgpr_read_b32 v30, a180
	v_accvgpr_read_b32 v32, a182
	v_accvgpr_read_b32 v33, a183
	;; [unrolled: 8-line block ×6, first 2 shown]
	v_accvgpr_read_b32 v31, a197
	s_waitcnt lgkmcnt(2)
	v_mul_f64 v[128:129], v[32:33], v[80:81]
	v_mul_f64 v[28:29], v[32:33], v[78:79]
	v_fmac_f64_e32 v[128:129], v[30:31], v[78:79]
	v_fma_f64 v[80:81], v[30:31], v[80:81], -v[28:29]
	v_accvgpr_read_b32 v30, a200
	v_accvgpr_read_b32 v32, a202
	;; [unrolled: 1-line block ×4, first 2 shown]
	v_mul_f64 v[130:131], v[32:33], v[72:73]
	v_mul_f64 v[28:29], v[32:33], v[70:71]
	v_fmac_f64_e32 v[130:131], v[30:31], v[70:71]
	v_fma_f64 v[132:133], v[30:31], v[72:73], -v[28:29]
	v_accvgpr_read_b32 v30, a204
	v_accvgpr_read_b32 v32, a206
	;; [unrolled: 1-line block ×4, first 2 shown]
	s_waitcnt lgkmcnt(1)
	v_mul_f64 v[134:135], v[32:33], v[84:85]
	v_mul_f64 v[28:29], v[32:33], v[82:83]
	v_fmac_f64_e32 v[134:135], v[30:31], v[82:83]
	v_fma_f64 v[136:137], v[30:31], v[84:85], -v[28:29]
	s_waitcnt lgkmcnt(0)
	v_mul_f64 v[28:29], v[242:243], v[86:87]
	v_add_f64 v[30:31], v[90:91], v[76:77]
	s_mov_b32 s0, 0xe8584caa
	v_mul_f64 v[138:139], v[242:243], v[88:89]
	v_fma_f64 v[88:89], v[240:241], v[88:89], -v[28:29]
	v_add_f64 v[28:29], v[0:1], v[90:91]
	v_fmac_f64_e32 v[0:1], -0.5, v[30:31]
	v_add_f64 v[30:31], v[74:75], -v[94:95]
	s_mov_b32 s1, 0xbfebb67a
	s_mov_b32 s3, 0x3febb67a
	;; [unrolled: 1-line block ×3, first 2 shown]
	v_add_f64 v[34:35], v[74:75], v[94:95]
	v_fma_f64 v[32:33], s[0:1], v[30:31], v[0:1]
	v_fmac_f64_e32 v[0:1], s[2:3], v[30:31]
	v_add_f64 v[30:31], v[2:3], v[74:75]
	v_fmac_f64_e32 v[2:3], -0.5, v[34:35]
	v_add_f64 v[42:43], v[90:91], -v[76:77]
	v_add_f64 v[44:45], v[96:97], v[100:101]
	v_fma_f64 v[34:35], s[2:3], v[42:43], v[2:3]
	v_fmac_f64_e32 v[2:3], s[0:1], v[42:43]
	v_add_f64 v[42:43], v[4:5], v[96:97]
	v_fmac_f64_e32 v[4:5], -0.5, v[44:45]
	v_add_f64 v[44:45], v[98:99], -v[102:103]
	;; [unrolled: 6-line block ×8, first 2 shown]
	v_add_f64 v[72:73], v[122:123], v[126:127]
	v_add_f64 v[28:29], v[28:29], v[76:77]
	v_fma_f64 v[70:71], s[0:1], v[68:69], v[16:17]
	v_fmac_f64_e32 v[16:17], s[2:3], v[68:69]
	v_add_f64 v[68:69], v[18:19], v[122:123]
	v_fmac_f64_e32 v[18:19], -0.5, v[72:73]
	v_add_f64 v[74:75], v[120:121], -v[124:125]
	v_add_f64 v[76:77], v[128:129], v[130:131]
	v_fma_f64 v[72:73], s[2:3], v[74:75], v[18:19]
	v_fmac_f64_e32 v[18:19], s[0:1], v[74:75]
	v_add_f64 v[74:75], v[20:21], v[128:129]
	v_fmac_f64_e32 v[20:21], -0.5, v[76:77]
	v_add_f64 v[76:77], v[80:81], -v[132:133]
	v_fmac_f64_e32 v[138:139], v[240:241], v[86:87]
	v_fma_f64 v[78:79], s[0:1], v[76:77], v[20:21]
	v_fmac_f64_e32 v[20:21], s[2:3], v[76:77]
	v_add_f64 v[76:77], v[22:23], v[80:81]
	v_add_f64 v[80:81], v[80:81], v[132:133]
	v_fmac_f64_e32 v[22:23], -0.5, v[80:81]
	v_add_f64 v[82:83], v[128:129], -v[130:131]
	v_add_f64 v[84:85], v[134:135], v[138:139]
	v_fma_f64 v[80:81], s[2:3], v[82:83], v[22:23]
	v_fmac_f64_e32 v[22:23], s[0:1], v[82:83]
	v_add_f64 v[82:83], v[24:25], v[134:135]
	v_fmac_f64_e32 v[24:25], -0.5, v[84:85]
	v_add_f64 v[84:85], v[136:137], -v[88:89]
	v_fma_f64 v[86:87], s[0:1], v[84:85], v[24:25]
	v_fmac_f64_e32 v[24:25], s[2:3], v[84:85]
	v_add_f64 v[84:85], v[26:27], v[136:137]
	v_add_f64 v[84:85], v[84:85], v[88:89]
	;; [unrolled: 1-line block ×4, first 2 shown]
	v_fmac_f64_e32 v[26:27], -0.5, v[88:89]
	v_add_f64 v[90:91], v[134:135], -v[138:139]
	v_add_f64 v[42:43], v[42:43], v[100:101]
	v_add_f64 v[44:45], v[44:45], v[102:103]
	;; [unrolled: 1-line block ×11, first 2 shown]
	v_fma_f64 v[88:89], s[2:3], v[90:91], v[26:27]
	v_fmac_f64_e32 v[26:27], s[0:1], v[90:91]
	ds_write_b128 v92, v[28:31]
	ds_write_b128 v92, v[32:35] offset:6160
	ds_write_b128 v92, v[0:3] offset:12320
	;; [unrolled: 1-line block ×20, first 2 shown]
	s_waitcnt lgkmcnt(0)
	; wave barrier
	s_waitcnt lgkmcnt(0)
	ds_read_b128 v[0:3], v92
	v_mov_b32_e32 v40, v39
	v_mad_u64_u32 v[4:5], s[0:1], s7, v220, v[40:41]
	v_mov_b32_e32 v39, v4
	ds_read_b128 v[4:7], v92 offset:1680
	s_waitcnt lgkmcnt(1)
	v_mul_f64 v[8:9], v[230:231], v[2:3]
	v_fmac_f64_e32 v[8:9], v[228:229], v[0:1]
	s_mov_b32 s0, 0x33a4aea8
	v_mul_f64 v[0:1], v[230:231], v[0:1]
	s_mov_b32 s1, 0x3f4c5edd
	v_fma_f64 v[0:1], v[228:229], v[2:3], -v[0:1]
	v_mul_f64 v[10:11], v[0:1], s[0:1]
	v_mad_u64_u32 v[0:1], s[2:3], s4, v218, 0
	v_mov_b32_e32 v2, v1
	v_mad_u64_u32 v[2:3], s[2:3], s5, v218, v[2:3]
	v_mov_b32_e32 v1, v2
	v_lshl_add_u64 v[2:3], v[38:39], 4, v[36:37]
	v_mul_f64 v[8:9], v[8:9], s[0:1]
	v_lshl_add_u64 v[12:13], v[0:1], 4, v[2:3]
	global_store_dwordx4 v[12:13], v[8:11], off
	s_mul_i32 s2, s5, 0x69
	s_mul_hi_u32 s3, s4, 0x69
	v_accvgpr_read_b32 v8, a44
	v_accvgpr_read_b32 v10, a46
	v_accvgpr_read_b32 v11, a47
	v_accvgpr_read_b32 v9, a45
	s_waitcnt lgkmcnt(0)
	v_mul_f64 v[0:1], v[10:11], v[6:7]
	v_mul_f64 v[2:3], v[10:11], v[4:5]
	v_fmac_f64_e32 v[0:1], v[8:9], v[4:5]
	v_fma_f64 v[2:3], v[8:9], v[6:7], -v[2:3]
	ds_read_b128 v[4:7], v92 offset:3360
	s_add_i32 s3, s3, s2
	s_mul_i32 s2, s4, 0x69
	s_lshl_b64 s[2:3], s[2:3], 4
	v_mul_f64 v[0:1], v[0:1], s[0:1]
	v_mul_f64 v[2:3], v[2:3], s[0:1]
	v_lshl_add_u64 v[12:13], v[12:13], 0, s[2:3]
	global_store_dwordx4 v[12:13], v[0:3], off
	ds_read_b128 v[0:3], v92 offset:5040
	s_waitcnt lgkmcnt(1)
	v_mul_f64 v[8:9], v[234:235], v[6:7]
	v_fmac_f64_e32 v[8:9], v[232:233], v[4:5]
	v_mul_f64 v[4:5], v[234:235], v[4:5]
	v_fma_f64 v[4:5], v[232:233], v[6:7], -v[4:5]
	v_mul_f64 v[8:9], v[8:9], s[0:1]
	v_mul_f64 v[10:11], v[4:5], s[0:1]
	v_lshl_add_u64 v[12:13], v[12:13], 0, s[2:3]
	global_store_dwordx4 v[12:13], v[8:11], off
	v_accvgpr_read_b32 v6, a28
	v_accvgpr_read_b32 v7, a29
	v_accvgpr_read_b32 v8, a30
	v_accvgpr_read_b32 v9, a31
	s_waitcnt lgkmcnt(0)
	v_mul_f64 v[4:5], v[8:9], v[2:3]
	v_fmac_f64_e32 v[4:5], v[6:7], v[0:1]
	v_mul_f64 v[0:1], v[8:9], v[0:1]
	v_fma_f64 v[6:7], v[6:7], v[2:3], -v[0:1]
	ds_read_b128 v[0:3], v92 offset:6720
	v_accvgpr_read_b32 v17, a15
	v_mul_f64 v[4:5], v[4:5], s[0:1]
	v_mul_f64 v[6:7], v[6:7], s[0:1]
	v_lshl_add_u64 v[12:13], v[12:13], 0, s[2:3]
	v_accvgpr_read_b32 v16, a14
	global_store_dwordx4 v[12:13], v[4:7], off
	ds_read_b128 v[4:7], v92 offset:8400
	v_accvgpr_read_b32 v15, a13
	v_accvgpr_read_b32 v14, a12
	s_waitcnt lgkmcnt(1)
	v_mul_f64 v[8:9], v[16:17], v[2:3]
	v_fmac_f64_e32 v[8:9], v[14:15], v[0:1]
	v_mul_f64 v[0:1], v[16:17], v[0:1]
	v_fma_f64 v[0:1], v[14:15], v[2:3], -v[0:1]
	v_mul_f64 v[8:9], v[8:9], s[0:1]
	v_mul_f64 v[10:11], v[0:1], s[0:1]
	v_lshl_add_u64 v[12:13], v[12:13], 0, s[2:3]
	global_store_dwordx4 v[12:13], v[8:11], off
	v_accvgpr_read_b32 v14, a16
	v_lshl_add_u64 v[12:13], v[12:13], 0, s[2:3]
	v_accvgpr_read_b32 v8, a32
	v_accvgpr_read_b32 v10, a34
	;; [unrolled: 1-line block ×4, first 2 shown]
	s_waitcnt lgkmcnt(0)
	v_mul_f64 v[0:1], v[10:11], v[6:7]
	v_mul_f64 v[2:3], v[10:11], v[4:5]
	v_fmac_f64_e32 v[0:1], v[8:9], v[4:5]
	v_fma_f64 v[2:3], v[8:9], v[6:7], -v[2:3]
	ds_read_b128 v[4:7], v92 offset:10080
	v_mul_f64 v[0:1], v[0:1], s[0:1]
	v_mul_f64 v[2:3], v[2:3], s[0:1]
	v_accvgpr_read_b32 v16, a18
	v_accvgpr_read_b32 v17, a19
	global_store_dwordx4 v[12:13], v[0:3], off
	ds_read_b128 v[0:3], v92 offset:11760
	v_accvgpr_read_b32 v15, a17
	s_waitcnt lgkmcnt(1)
	v_mul_f64 v[8:9], v[16:17], v[6:7]
	v_fmac_f64_e32 v[8:9], v[14:15], v[4:5]
	v_mul_f64 v[4:5], v[16:17], v[4:5]
	v_fma_f64 v[4:5], v[14:15], v[6:7], -v[4:5]
	v_mul_f64 v[8:9], v[8:9], s[0:1]
	v_mul_f64 v[10:11], v[4:5], s[0:1]
	v_lshl_add_u64 v[12:13], v[12:13], 0, s[2:3]
	global_store_dwordx4 v[12:13], v[8:11], off
	v_accvgpr_read_b32 v6, a24
	v_accvgpr_read_b32 v7, a25
	;; [unrolled: 1-line block ×4, first 2 shown]
	s_waitcnt lgkmcnt(0)
	v_mul_f64 v[4:5], v[8:9], v[2:3]
	v_fmac_f64_e32 v[4:5], v[6:7], v[0:1]
	v_mul_f64 v[0:1], v[8:9], v[0:1]
	v_fma_f64 v[6:7], v[6:7], v[2:3], -v[0:1]
	ds_read_b128 v[0:3], v92 offset:13440
	v_accvgpr_read_b32 v14, a40
	v_mul_f64 v[4:5], v[4:5], s[0:1]
	v_mul_f64 v[6:7], v[6:7], s[0:1]
	v_lshl_add_u64 v[12:13], v[12:13], 0, s[2:3]
	v_accvgpr_read_b32 v16, a42
	v_accvgpr_read_b32 v17, a43
	global_store_dwordx4 v[12:13], v[4:7], off
	ds_read_b128 v[4:7], v92 offset:15120
	v_accvgpr_read_b32 v15, a41
	s_waitcnt lgkmcnt(1)
	v_mul_f64 v[8:9], v[16:17], v[2:3]
	v_fmac_f64_e32 v[8:9], v[14:15], v[0:1]
	v_mul_f64 v[0:1], v[16:17], v[0:1]
	v_fma_f64 v[0:1], v[14:15], v[2:3], -v[0:1]
	v_mul_f64 v[8:9], v[8:9], s[0:1]
	v_mul_f64 v[10:11], v[0:1], s[0:1]
	v_lshl_add_u64 v[12:13], v[12:13], 0, s[2:3]
	global_store_dwordx4 v[12:13], v[8:11], off
	v_accvgpr_read_b32 v14, a20
	ds_read_b128 v[8:11], v92 offset:16800
	v_accvgpr_read_b32 v16, a22
	v_accvgpr_read_b32 v17, a23
	;; [unrolled: 1-line block ×3, first 2 shown]
	s_waitcnt lgkmcnt(1)
	v_mul_f64 v[0:1], v[16:17], v[6:7]
	v_mul_f64 v[2:3], v[16:17], v[4:5]
	v_fmac_f64_e32 v[0:1], v[14:15], v[4:5]
	v_fma_f64 v[2:3], v[14:15], v[6:7], -v[2:3]
	v_lshl_add_u64 v[6:7], v[12:13], 0, s[2:3]
	v_accvgpr_read_b32 v12, a36
	v_mul_f64 v[0:1], v[0:1], s[0:1]
	v_mul_f64 v[2:3], v[2:3], s[0:1]
	v_accvgpr_read_b32 v14, a38
	v_accvgpr_read_b32 v15, a39
	global_store_dwordx4 v[6:7], v[0:3], off
	v_accvgpr_read_b32 v13, a37
	s_waitcnt lgkmcnt(0)
	v_mul_f64 v[0:1], v[14:15], v[10:11]
	v_fmac_f64_e32 v[0:1], v[12:13], v[8:9]
	v_mul_f64 v[2:3], v[0:1], s[0:1]
	v_mul_f64 v[0:1], v[14:15], v[8:9]
	v_fma_f64 v[0:1], v[12:13], v[10:11], -v[0:1]
	v_mul_f64 v[4:5], v[0:1], s[0:1]
	v_lshl_add_u64 v[0:1], v[6:7], 0, s[2:3]
	global_store_dwordx4 v[0:1], v[2:5], off
	s_and_b64 exec, exec, vcc
	s_cbranch_execz .LBB0_23
; %bb.22:
	global_load_dwordx4 v[2:5], v[238:239], off offset:880
	ds_read_b128 v[6:9], v92 offset:880
	ds_read_b128 v[10:13], v92 offset:2560
	v_mov_b32_e32 v14, 0xffffc1d0
	s_mulk_i32 s5, 0xc1d0
	v_mad_u64_u32 v[14:15], s[6:7], s4, v14, v[0:1]
	s_sub_i32 s4, s5, s4
	v_add_u32_e32 v15, s4, v15
	s_movk_i32 s4, 0x1000
	v_add_co_u32_e32 v16, vcc, s4, v238
	s_movk_i32 s4, 0x2000
	s_nop 0
	v_addc_co_u32_e32 v17, vcc, 0, v239, vcc
	s_waitcnt vmcnt(0) lgkmcnt(1)
	v_mul_f64 v[0:1], v[8:9], v[4:5]
	v_mul_f64 v[4:5], v[6:7], v[4:5]
	v_fmac_f64_e32 v[0:1], v[6:7], v[2:3]
	v_fma_f64 v[2:3], v[2:3], v[8:9], -v[4:5]
	v_mul_f64 v[0:1], v[0:1], s[0:1]
	v_mul_f64 v[2:3], v[2:3], s[0:1]
	global_store_dwordx4 v[14:15], v[0:3], off
	global_load_dwordx4 v[0:3], v[238:239], off offset:2560
	v_lshl_add_u64 v[14:15], v[14:15], 0, s[2:3]
	s_waitcnt vmcnt(0) lgkmcnt(0)
	v_mul_f64 v[4:5], v[12:13], v[2:3]
	v_mul_f64 v[2:3], v[10:11], v[2:3]
	v_fmac_f64_e32 v[4:5], v[10:11], v[0:1]
	v_fma_f64 v[2:3], v[0:1], v[12:13], -v[2:3]
	v_mul_f64 v[0:1], v[4:5], s[0:1]
	v_mul_f64 v[2:3], v[2:3], s[0:1]
	global_store_dwordx4 v[14:15], v[0:3], off
	global_load_dwordx4 v[0:3], v[16:17], off offset:144
	ds_read_b128 v[4:7], v92 offset:4240
	ds_read_b128 v[8:11], v92 offset:5920
	v_lshl_add_u64 v[12:13], v[14:15], 0, s[2:3]
	s_waitcnt vmcnt(0) lgkmcnt(1)
	v_mul_f64 v[14:15], v[6:7], v[2:3]
	v_mul_f64 v[2:3], v[4:5], v[2:3]
	v_fmac_f64_e32 v[14:15], v[4:5], v[0:1]
	v_fma_f64 v[2:3], v[0:1], v[6:7], -v[2:3]
	v_mul_f64 v[0:1], v[14:15], s[0:1]
	v_mul_f64 v[2:3], v[2:3], s[0:1]
	global_store_dwordx4 v[12:13], v[0:3], off
	global_load_dwordx4 v[0:3], v[16:17], off offset:1824
	v_lshl_add_u64 v[12:13], v[12:13], 0, s[2:3]
	v_add_co_u32_e32 v14, vcc, s4, v238
	s_movk_i32 s4, 0x3000
	s_nop 0
	v_addc_co_u32_e32 v15, vcc, 0, v239, vcc
	s_waitcnt vmcnt(0) lgkmcnt(0)
	v_mul_f64 v[4:5], v[10:11], v[2:3]
	v_mul_f64 v[2:3], v[8:9], v[2:3]
	v_fmac_f64_e32 v[4:5], v[8:9], v[0:1]
	v_fma_f64 v[2:3], v[0:1], v[10:11], -v[2:3]
	v_mul_f64 v[0:1], v[4:5], s[0:1]
	v_mul_f64 v[2:3], v[2:3], s[0:1]
	global_store_dwordx4 v[12:13], v[0:3], off
	global_load_dwordx4 v[0:3], v[16:17], off offset:3504
	ds_read_b128 v[4:7], v92 offset:7600
	ds_read_b128 v[8:11], v92 offset:9280
	v_lshl_add_u64 v[12:13], v[12:13], 0, s[2:3]
	s_waitcnt vmcnt(0) lgkmcnt(1)
	v_mul_f64 v[16:17], v[6:7], v[2:3]
	v_mul_f64 v[2:3], v[4:5], v[2:3]
	v_fmac_f64_e32 v[16:17], v[4:5], v[0:1]
	v_fma_f64 v[2:3], v[0:1], v[6:7], -v[2:3]
	v_mul_f64 v[0:1], v[16:17], s[0:1]
	v_mul_f64 v[2:3], v[2:3], s[0:1]
	global_store_dwordx4 v[12:13], v[0:3], off
	global_load_dwordx4 v[0:3], v[14:15], off offset:1088
	v_lshl_add_u64 v[12:13], v[12:13], 0, s[2:3]
	s_waitcnt vmcnt(0) lgkmcnt(0)
	v_mul_f64 v[4:5], v[10:11], v[2:3]
	v_mul_f64 v[2:3], v[8:9], v[2:3]
	v_fmac_f64_e32 v[4:5], v[8:9], v[0:1]
	v_fma_f64 v[2:3], v[0:1], v[10:11], -v[2:3]
	v_mul_f64 v[0:1], v[4:5], s[0:1]
	v_mul_f64 v[2:3], v[2:3], s[0:1]
	global_store_dwordx4 v[12:13], v[0:3], off
	global_load_dwordx4 v[0:3], v[14:15], off offset:2768
	ds_read_b128 v[4:7], v92 offset:10960
	ds_read_b128 v[8:11], v92 offset:12640
	v_add_co_u32_e32 v14, vcc, s4, v238
	v_lshl_add_u64 v[12:13], v[12:13], 0, s[2:3]
	s_nop 0
	v_addc_co_u32_e32 v15, vcc, 0, v239, vcc
	s_movk_i32 s4, 0x4000
	s_waitcnt vmcnt(0) lgkmcnt(1)
	v_mul_f64 v[16:17], v[6:7], v[2:3]
	v_mul_f64 v[2:3], v[4:5], v[2:3]
	v_fmac_f64_e32 v[16:17], v[4:5], v[0:1]
	v_fma_f64 v[2:3], v[0:1], v[6:7], -v[2:3]
	v_mul_f64 v[0:1], v[16:17], s[0:1]
	v_mul_f64 v[2:3], v[2:3], s[0:1]
	global_store_dwordx4 v[12:13], v[0:3], off
	global_load_dwordx4 v[0:3], v[14:15], off offset:352
	v_lshl_add_u64 v[12:13], v[12:13], 0, s[2:3]
	s_waitcnt vmcnt(0) lgkmcnt(0)
	v_mul_f64 v[4:5], v[10:11], v[2:3]
	v_mul_f64 v[2:3], v[8:9], v[2:3]
	v_fmac_f64_e32 v[4:5], v[8:9], v[0:1]
	v_fma_f64 v[2:3], v[0:1], v[10:11], -v[2:3]
	v_mul_f64 v[0:1], v[4:5], s[0:1]
	v_mul_f64 v[2:3], v[2:3], s[0:1]
	global_store_dwordx4 v[12:13], v[0:3], off
	global_load_dwordx4 v[0:3], v[14:15], off offset:2032
	ds_read_b128 v[4:7], v92 offset:14320
	ds_read_b128 v[8:11], v92 offset:16000
	v_lshl_add_u64 v[12:13], v[12:13], 0, s[2:3]
	s_waitcnt vmcnt(0) lgkmcnt(1)
	v_mul_f64 v[16:17], v[6:7], v[2:3]
	v_mul_f64 v[2:3], v[4:5], v[2:3]
	v_fmac_f64_e32 v[16:17], v[4:5], v[0:1]
	v_fma_f64 v[2:3], v[0:1], v[6:7], -v[2:3]
	v_mul_f64 v[0:1], v[16:17], s[0:1]
	v_mul_f64 v[2:3], v[2:3], s[0:1]
	global_store_dwordx4 v[12:13], v[0:3], off
	global_load_dwordx4 v[0:3], v[14:15], off offset:3712
	v_add_co_u32_e32 v4, vcc, s4, v238
	v_lshl_add_u64 v[12:13], v[12:13], 0, s[2:3]
	s_nop 0
	v_addc_co_u32_e32 v5, vcc, 0, v239, vcc
	s_waitcnt vmcnt(0) lgkmcnt(0)
	v_mul_f64 v[6:7], v[10:11], v[2:3]
	v_mul_f64 v[2:3], v[8:9], v[2:3]
	v_fmac_f64_e32 v[6:7], v[8:9], v[0:1]
	v_fma_f64 v[2:3], v[0:1], v[10:11], -v[2:3]
	v_mul_f64 v[0:1], v[6:7], s[0:1]
	v_mul_f64 v[2:3], v[2:3], s[0:1]
	global_store_dwordx4 v[12:13], v[0:3], off
	global_load_dwordx4 v[0:3], v[4:5], off offset:1296
	ds_read_b128 v[4:7], v92 offset:17680
	s_waitcnt vmcnt(0) lgkmcnt(0)
	v_mul_f64 v[8:9], v[6:7], v[2:3]
	v_mul_f64 v[2:3], v[4:5], v[2:3]
	v_fmac_f64_e32 v[8:9], v[4:5], v[0:1]
	v_fma_f64 v[2:3], v[0:1], v[6:7], -v[2:3]
	v_mul_f64 v[0:1], v[8:9], s[0:1]
	v_mul_f64 v[2:3], v[2:3], s[0:1]
	v_lshl_add_u64 v[4:5], v[12:13], 0, s[2:3]
	global_store_dwordx4 v[4:5], v[0:3], off
.LBB0_23:
	s_endpgm
	.section	.rodata,"a",@progbits
	.p2align	6, 0x0
	.amdhsa_kernel bluestein_single_fwd_len1155_dim1_dp_op_CI_CI
		.amdhsa_group_segment_fixed_size 18480
		.amdhsa_private_segment_fixed_size 0
		.amdhsa_kernarg_size 104
		.amdhsa_user_sgpr_count 2
		.amdhsa_user_sgpr_dispatch_ptr 0
		.amdhsa_user_sgpr_queue_ptr 0
		.amdhsa_user_sgpr_kernarg_segment_ptr 1
		.amdhsa_user_sgpr_dispatch_id 0
		.amdhsa_user_sgpr_kernarg_preload_length 0
		.amdhsa_user_sgpr_kernarg_preload_offset 0
		.amdhsa_user_sgpr_private_segment_size 0
		.amdhsa_uses_dynamic_stack 0
		.amdhsa_enable_private_segment 0
		.amdhsa_system_sgpr_workgroup_id_x 1
		.amdhsa_system_sgpr_workgroup_id_y 0
		.amdhsa_system_sgpr_workgroup_id_z 0
		.amdhsa_system_sgpr_workgroup_info 0
		.amdhsa_system_vgpr_workitem_id 0
		.amdhsa_next_free_vgpr 464
		.amdhsa_next_free_sgpr 44
		.amdhsa_accum_offset 256
		.amdhsa_reserve_vcc 1
		.amdhsa_float_round_mode_32 0
		.amdhsa_float_round_mode_16_64 0
		.amdhsa_float_denorm_mode_32 3
		.amdhsa_float_denorm_mode_16_64 3
		.amdhsa_dx10_clamp 1
		.amdhsa_ieee_mode 1
		.amdhsa_fp16_overflow 0
		.amdhsa_tg_split 0
		.amdhsa_exception_fp_ieee_invalid_op 0
		.amdhsa_exception_fp_denorm_src 0
		.amdhsa_exception_fp_ieee_div_zero 0
		.amdhsa_exception_fp_ieee_overflow 0
		.amdhsa_exception_fp_ieee_underflow 0
		.amdhsa_exception_fp_ieee_inexact 0
		.amdhsa_exception_int_div_zero 0
	.end_amdhsa_kernel
	.text
.Lfunc_end0:
	.size	bluestein_single_fwd_len1155_dim1_dp_op_CI_CI, .Lfunc_end0-bluestein_single_fwd_len1155_dim1_dp_op_CI_CI
                                        ; -- End function
	.section	.AMDGPU.csdata,"",@progbits
; Kernel info:
; codeLenInByte = 34676
; NumSgprs: 50
; NumVgprs: 256
; NumAgprs: 208
; TotalNumVgprs: 464
; ScratchSize: 0
; MemoryBound: 0
; FloatMode: 240
; IeeeMode: 1
; LDSByteSize: 18480 bytes/workgroup (compile time only)
; SGPRBlocks: 6
; VGPRBlocks: 57
; NumSGPRsForWavesPerEU: 50
; NumVGPRsForWavesPerEU: 464
; AccumOffset: 256
; Occupancy: 1
; WaveLimiterHint : 1
; COMPUTE_PGM_RSRC2:SCRATCH_EN: 0
; COMPUTE_PGM_RSRC2:USER_SGPR: 2
; COMPUTE_PGM_RSRC2:TRAP_HANDLER: 0
; COMPUTE_PGM_RSRC2:TGID_X_EN: 1
; COMPUTE_PGM_RSRC2:TGID_Y_EN: 0
; COMPUTE_PGM_RSRC2:TGID_Z_EN: 0
; COMPUTE_PGM_RSRC2:TIDIG_COMP_CNT: 0
; COMPUTE_PGM_RSRC3_GFX90A:ACCUM_OFFSET: 63
; COMPUTE_PGM_RSRC3_GFX90A:TG_SPLIT: 0
	.text
	.p2alignl 6, 3212836864
	.fill 256, 4, 3212836864
	.type	__hip_cuid_e24dbc2f5ae77cf5,@object ; @__hip_cuid_e24dbc2f5ae77cf5
	.section	.bss,"aw",@nobits
	.globl	__hip_cuid_e24dbc2f5ae77cf5
__hip_cuid_e24dbc2f5ae77cf5:
	.byte	0                               ; 0x0
	.size	__hip_cuid_e24dbc2f5ae77cf5, 1

	.ident	"AMD clang version 19.0.0git (https://github.com/RadeonOpenCompute/llvm-project roc-6.4.0 25133 c7fe45cf4b819c5991fe208aaa96edf142730f1d)"
	.section	".note.GNU-stack","",@progbits
	.addrsig
	.addrsig_sym __hip_cuid_e24dbc2f5ae77cf5
	.amdgpu_metadata
---
amdhsa.kernels:
  - .agpr_count:     208
    .args:
      - .actual_access:  read_only
        .address_space:  global
        .offset:         0
        .size:           8
        .value_kind:     global_buffer
      - .actual_access:  read_only
        .address_space:  global
        .offset:         8
        .size:           8
        .value_kind:     global_buffer
      - .actual_access:  read_only
        .address_space:  global
        .offset:         16
        .size:           8
        .value_kind:     global_buffer
      - .actual_access:  read_only
        .address_space:  global
        .offset:         24
        .size:           8
        .value_kind:     global_buffer
      - .actual_access:  read_only
        .address_space:  global
        .offset:         32
        .size:           8
        .value_kind:     global_buffer
      - .offset:         40
        .size:           8
        .value_kind:     by_value
      - .address_space:  global
        .offset:         48
        .size:           8
        .value_kind:     global_buffer
      - .address_space:  global
        .offset:         56
        .size:           8
        .value_kind:     global_buffer
      - .address_space:  global
        .offset:         64
        .size:           8
        .value_kind:     global_buffer
      - .address_space:  global
        .offset:         72
        .size:           8
        .value_kind:     global_buffer
      - .offset:         80
        .size:           4
        .value_kind:     by_value
      - .address_space:  global
        .offset:         88
        .size:           8
        .value_kind:     global_buffer
      - .address_space:  global
        .offset:         96
        .size:           8
        .value_kind:     global_buffer
    .group_segment_fixed_size: 18480
    .kernarg_segment_align: 8
    .kernarg_segment_size: 104
    .language:       OpenCL C
    .language_version:
      - 2
      - 0
    .max_flat_workgroup_size: 55
    .name:           bluestein_single_fwd_len1155_dim1_dp_op_CI_CI
    .private_segment_fixed_size: 0
    .sgpr_count:     50
    .sgpr_spill_count: 0
    .symbol:         bluestein_single_fwd_len1155_dim1_dp_op_CI_CI.kd
    .uniform_work_group_size: 1
    .uses_dynamic_stack: false
    .vgpr_count:     464
    .vgpr_spill_count: 0
    .wavefront_size: 64
amdhsa.target:   amdgcn-amd-amdhsa--gfx950
amdhsa.version:
  - 1
  - 2
...

	.end_amdgpu_metadata
